;; amdgpu-corpus repo=ROCm/Tensile kind=harvested arch=n/a opt=n/a

/******************************************/
/* Function Prefix                        */
/******************************************/



/******************************************/
/* Begin Kernel                           */
/******************************************/

// Component.Signature.SignatureDefault
.amdgcn_target "amdgcn-amd-amdhsa--gfx906"
.text
.protected Cijk_Ailk_Bjlk_HB_MT256x256x32_SN_AF0EM2_AMAS3_ASEM2_BL1_DTLA0_DTLB0_EPS0_FL1_GLVWA8_GLVWB8_GRVW8_GSU5_ISA906_K1_KLA_LPA0_LPB0_LRVW4_MMFGLC_NLCA1_NLCB1_PGR0_PLR1_SUS256_TT16_16_USFGRO0_VAW2_VS1_VW4_VWB4_WS64_WG16_16_1_WGM8
.globl Cijk_Ailk_Bjlk_HB_MT256x256x32_SN_AF0EM2_AMAS3_ASEM2_BL1_DTLA0_DTLB0_EPS0_FL1_GLVWA8_GLVWB8_GRVW8_GSU5_ISA906_K1_KLA_LPA0_LPB0_LRVW4_MMFGLC_NLCA1_NLCB1_PGR0_PLR1_SUS256_TT16_16_USFGRO0_VAW2_VS1_VW4_VWB4_WS64_WG16_16_1_WGM8
.p2align 8
.type Cijk_Ailk_Bjlk_HB_MT256x256x32_SN_AF0EM2_AMAS3_ASEM2_BL1_DTLA0_DTLB0_EPS0_FL1_GLVWA8_GLVWB8_GRVW8_GSU5_ISA906_K1_KLA_LPA0_LPB0_LRVW4_MMFGLC_NLCA1_NLCB1_PGR0_PLR1_SUS256_TT16_16_USFGRO0_VAW2_VS1_VW4_VWB4_WS64_WG16_16_1_WGM8,@function
.section .rodata,#alloc
.p2align 6
.amdhsa_kernel Cijk_Ailk_Bjlk_HB_MT256x256x32_SN_AF0EM2_AMAS3_ASEM2_BL1_DTLA0_DTLB0_EPS0_FL1_GLVWA8_GLVWB8_GRVW8_GSU5_ISA906_K1_KLA_LPA0_LPB0_LRVW4_MMFGLC_NLCA1_NLCB1_PGR0_PLR1_SUS256_TT16_16_USFGRO0_VAW2_VS1_VW4_VWB4_WS64_WG16_16_1_WGM8
  .amdhsa_user_sgpr_kernarg_segment_ptr 1
  .amdhsa_user_sgpr_count 2
  .amdhsa_next_free_vgpr 176 // vgprs
  .amdhsa_next_free_sgpr 86 // sgprs
  .amdhsa_group_segment_fixed_size 32768 // lds bytes
  .amdhsa_private_segment_fixed_size 0
  .amdhsa_system_sgpr_workgroup_id_x 1
  .amdhsa_system_sgpr_workgroup_id_y 1
  .amdhsa_system_sgpr_workgroup_id_z 1
  .amdhsa_system_vgpr_workitem_id 0
  .amdhsa_float_denorm_mode_32 3
  .amdhsa_float_denorm_mode_16_64 3
.end_amdhsa_kernel
.text

/******************************************/
/* Optimizations and Config:              */
/******************************************/
/* ThreadTile= 16 x 16 */
/* SubGroup= 16 x 16 */
/* VectorWidth=4 */
/* GlobalLoadVectorWidthA=8, GlobalLoadVectorWidthB=8 */
/* DirectToLdsA=False */
/* DirectToLdsB=False */
/* UseSgprForGRO=0 */
.amdgpu_metadata
---
amdhsa.version:
  - 1
  - 2
amdhsa.target: amdgcn-amd-amdhsa--gfx906
amdhsa.kernels:
  - .name: Cijk_Ailk_Bjlk_HB_MT256x256x32_SN_AF0EM2_AMAS3_ASEM2_BL1_DTLA0_DTLB0_EPS0_FL1_GLVWA8_GLVWB8_GRVW8_GSU5_ISA906_K1_KLA_LPA0_LPB0_LRVW4_MMFGLC_NLCA1_NLCB1_PGR0_PLR1_SUS256_TT16_16_USFGRO0_VAW2_VS1_VW4_VWB4_WS64_WG16_16_1_WGM8
    .symbol: 'Cijk_Ailk_Bjlk_HB_MT256x256x32_SN_AF0EM2_AMAS3_ASEM2_BL1_DTLA0_DTLB0_EPS0_FL1_GLVWA8_GLVWB8_GRVW8_GSU5_ISA906_K1_KLA_LPA0_LPB0_LRVW4_MMFGLC_NLCA1_NLCB1_PGR0_PLR1_SUS256_TT16_16_USFGRO0_VAW2_VS1_VW4_VWB4_WS64_WG16_16_1_WGM8.kd'
    .language:                   OpenCL C
    .language_version:
      - 2
      - 0
    .args:
      - .name:            Tensor2dSizeA
        .size:            8
        .offset:          0
        .value_kind:      by_value
        .value_type:      u64
      - .name:            Tensor2dSizeB
        .size:            8
        .offset:          8
        .value_kind:      by_value
        .value_type:      u64
      - .name:            AddressD
        .size:            8
        .offset:          16
        .value_kind:      by_value
        .value_type:      u64
      - .name:            AddressC
        .size:            8
        .offset:          24
        .value_kind:      by_value
        .value_type:      u64
      - .name:            AddressA
        .size:            8
        .offset:          32
        .value_kind:      by_value
        .value_type:      u64
      - .name:            AddressB
        .size:            8
        .offset:          40
        .value_kind:      by_value
        .value_type:      u64
      - .name:            Alpha
        .size:            4
        .offset:          48
        .value_kind:      by_value
        .value_type:      u32
      - .name:            Beta
        .size:            4
        .offset:          52
        .value_kind:      by_value
        .value_type:      u32
      - .name:            StridesD
        .size:            8
        .offset:          56
        .value_kind:      by_value
        .value_type:      u64
      - .name:            StridesC
        .size:            8
        .offset:          64
        .value_kind:      by_value
        .value_type:      u64
      - .name:            StridesA
        .size:            8
        .offset:          72
        .value_kind:      by_value
        .value_type:      u64
      - .name:            StridesB
        .size:            8
        .offset:          80
        .value_kind:      by_value
        .value_type:      u64
      - .name:            SizesFree
        .size:            12
        .offset:          88
        .value_kind:      by_value
        .value_type:      u96
      - .name:            SizesSum
        .size:            4
        .offset:          100
        .value_kind:      by_value
        .value_type:      u32
      - .name:            OrigStaggerUIter
        .size:            4
        .offset:          104
        .value_kind:      by_value
        .value_type:      u32
      - .name:            NumWorkGroups0
        .size:            4
        .offset:          108
        .value_kind:      by_value
        .value_type:      u32
      - .name:            NumWorkGroups1
        .size:            4
        .offset:          112
        .value_kind:      by_value
        .value_type:      u32
      - .name:            NumFullBlocks
        .size:            4
        .offset:          116
        .value_kind:      by_value
        .value_type:      u32
      - .name:            WgmRemainder1
        .size:            4
        .offset:          120
        .value_kind:      by_value
        .value_type:      u32
      - .name:            MagicNumberWgmRemainder1
        .size:            4
        .offset:          124
        .value_kind:      by_value
        .value_type:      u32
    .group_segment_fixed_size:   32768
    .kernarg_segment_align:      8
    .kernarg_segment_size:       128
    .max_flat_workgroup_size:    256
    .private_segment_fixed_size: 0
    .sgpr_count:                 86
    .sgpr_spill_count:           0
    .vgpr_count:                 176
    .vgpr_spill_count:           0
    .wavefront_size:             64
...
.end_amdgpu_metadata
Cijk_Ailk_Bjlk_HB_MT256x256x32_SN_AF0EM2_AMAS3_ASEM2_BL1_DTLA0_DTLB0_EPS0_FL1_GLVWA8_GLVWB8_GRVW8_GSU5_ISA906_K1_KLA_LPA0_LPB0_LRVW4_MMFGLC_NLCA1_NLCB1_PGR0_PLR1_SUS256_TT16_16_USFGRO0_VAW2_VS1_VW4_VWB4_WS64_WG16_16_1_WGM8:

/******************************************/
/* Asm syntax workarounds                 */
/******************************************/
.macro _v_add_co_u32 dst:req, cc:req, src0:req, src1:req, dpp=
   v_add_co_u32 \dst, \cc, \src0, \src1 \dpp
.endm

.macro _v_add_u32 dst:req, src0:req, src1:req, dpp=
   v_add_u32 \dst, \src0, \src1 \dpp
.endm

.macro _v_add_i32 dst:req, src0:req, src1:req, dpp=
   v_add_i32 \dst, \src0, \src1 \dpp
.endm

.macro _v_addc_co_u32 dst:req, ccOut:req, src0:req, ccIn:req, src1:req, dpp=
   v_addc_co_u32 \dst, \ccOut, \src0, \ccIn, \src1 \dpp
.endm

.macro _v_sub_co_u32 dst:req, cc:req, src0:req, src1:req, dpp=
   v_sub_co_u32 \dst, \cc, \src0, \src1 \dpp
.endm

.macro _v_sub_u32 dst:req, src0:req, src1:req, dpp=
   v_sub_u32 \dst, \src0, \src1 \dpp
.endm

.macro _v_sub_i32 dst:req, src0:req, src1:req, dpp=
   v_sub_i32 \dst, \src0, \src1 \dpp
.endm

.macro _v_add_lshl_u32 dst:req, src0:req, src1:req, shiftCnt:req
    v_add_lshl_u32 \dst, \src0, \src1, \shiftCnt
.endm

.macro _v_lshl_add_u32 dst:req, src0:req, src1:req, shiftCnt:req
    v_lshl_add_u32 \dst, \src0, \src1, \shiftCnt
.endm

.macro _v_lshl_or_b32 dst:req, src0:req, shiftCnt:req, src1:req
    v_lshl_or_b32 \dst, \src0, \shiftCnt, \src1
.endm

.macro _v_dot2acc_f32_f16 dst, src0, src1
v_dot2c_f32_f16 \dst, \src0, \src1
.endm

.macro _v_cmpx_lt_i16 dst, src0, src1=
   v_cmpx_lt_i16 \dst, \src0, \src1 
.endm

.macro _v_cmpx_lt_i32 dst, src0, src1=
   v_cmpx_lt_i32 \dst, \src0, \src1 
.endm

.macro _v_cmpx_lt_i64 dst, src0, src1=
   v_cmpx_lt_i64 \dst, \src0, \src1 
.endm

.macro _v_cmpx_lt_u16 dst, src0, src1=
   v_cmpx_lt_u16 \dst, \src0, \src1 
.endm

.macro _v_cmpx_lt_u32 dst, src0, src1=
   v_cmpx_lt_u32 \dst, \src0, \src1 
.endm

.macro _v_cmpx_lt_u64 dst, src0, src1=
   v_cmpx_lt_u64 \dst, \src0, \src1 
.endm

.macro _v_cmpx_eq_i16 dst, src0, src1=
   v_cmpx_eq_i16 \dst, \src0, \src1 
.endm

.macro _v_cmpx_eq_i32 dst, src0, src1=
   v_cmpx_eq_i32 \dst, \src0, \src1 
.endm

.macro _v_cmpx_eq_i64 dst, src0, src1=
   v_cmpx_eq_i64 \dst, \src0, \src1 
.endm

.macro _v_cmpx_eq_u16 dst, src0, src1=
   v_cmpx_eq_u16 \dst, \src0, \src1 
.endm

.macro _v_cmpx_eq_u32 dst, src0, src1=
   v_cmpx_eq_u32 \dst, \src0, \src1 
.endm

.macro _v_cmpx_eq_u64 dst, src0, src1=
   v_cmpx_eq_u64 \dst, \src0, \src1 
.endm

.macro _v_cmpx_le_i16 dst, src0, src1=
   v_cmpx_le_i16 \dst, \src0, \src1 
.endm

.macro _v_cmpx_le_i32 dst, src0, src1=
   v_cmpx_le_i32 \dst, \src0, \src1 
.endm

.macro _v_cmpx_le_i64 dst, src0, src1=
   v_cmpx_le_i64 \dst, \src0, \src1 
.endm

.macro _v_cmpx_le_u16 dst, src0, src1=
   v_cmpx_le_u16 \dst, \src0, \src1 
.endm

.macro _v_cmpx_le_u32 dst, src0, src1=
   v_cmpx_le_u32 \dst, \src0, \src1 
.endm

.macro _v_cmpx_le_u64 dst, src0, src1=
   v_cmpx_le_u64 \dst, \src0, \src1 
.endm

.macro _v_cmpx_gt_i16 dst, src0, src1=
   v_cmpx_gt_i16 \dst, \src0, \src1 
.endm

.macro _v_cmpx_gt_i32 dst, src0, src1=
   v_cmpx_gt_i32 \dst, \src0, \src1 
.endm

.macro _v_cmpx_gt_i64 dst, src0, src1=
   v_cmpx_gt_i64 \dst, \src0, \src1 
.endm

.macro _v_cmpx_gt_u16 dst, src0, src1=
   v_cmpx_gt_u16 \dst, \src0, \src1 
.endm

.macro _v_cmpx_gt_u32 dst, src0, src1=
   v_cmpx_gt_u32 \dst, \src0, \src1 
.endm

.macro _v_cmpx_gt_u64 dst, src0, src1=
   v_cmpx_gt_u64 \dst, \src0, \src1 
.endm

.macro _v_cmpx_ne_i16 dst, src0, src1=
   v_cmpx_ne_i16 \dst, \src0, \src1 
.endm

.macro _v_cmpx_ne_i32 dst, src0, src1=
   v_cmpx_ne_i32 \dst, \src0, \src1 
.endm

.macro _v_cmpx_ne_i64 dst, src0, src1=
   v_cmpx_ne_i64 \dst, \src0, \src1 
.endm

.macro _v_cmpx_ne_u16 dst, src0, src1=
   v_cmpx_ne_u16 \dst, \src0, \src1 
.endm

.macro _v_cmpx_ne_u32 dst, src0, src1=
   v_cmpx_ne_u32 \dst, \src0, \src1 
.endm

.macro _v_cmpx_ne_u64 dst, src0, src1=
   v_cmpx_ne_u64 \dst, \src0, \src1 
.endm

.macro _v_cmpx_lg_i16 dst, src0, src1=
   v_cmpx_lg_i16 \dst, \src0, \src1 
.endm

.macro _v_cmpx_lg_i32 dst, src0, src1=
   v_cmpx_lg_i32 \dst, \src0, \src1 
.endm

.macro _v_cmpx_lg_i64 dst, src0, src1=
   v_cmpx_lg_i64 \dst, \src0, \src1 
.endm

.macro _v_cmpx_lg_u16 dst, src0, src1=
   v_cmpx_lg_u16 \dst, \src0, \src1 
.endm

.macro _v_cmpx_lg_u32 dst, src0, src1=
   v_cmpx_lg_u32 \dst, \src0, \src1 
.endm

.macro _v_cmpx_lg_u64 dst, src0, src1=
   v_cmpx_lg_u64 \dst, \src0, \src1 
.endm

.macro _v_cmpx_ge_i16 dst, src0, src1=
   v_cmpx_ge_i16 \dst, \src0, \src1 
.endm

.macro _v_cmpx_ge_i32 dst, src0, src1=
   v_cmpx_ge_i32 \dst, \src0, \src1 
.endm

.macro _v_cmpx_ge_i64 dst, src0, src1=
   v_cmpx_ge_i64 \dst, \src0, \src1 
.endm

.macro _v_cmpx_ge_u16 dst, src0, src1=
   v_cmpx_ge_u16 \dst, \src0, \src1 
.endm

.macro _v_cmpx_ge_u32 dst, src0, src1=
   v_cmpx_ge_u32 \dst, \src0, \src1 
.endm

.macro _v_cmpx_ge_u64 dst, src0, src1=
   v_cmpx_ge_u64 \dst, \src0, \src1 
.endm

.macro _v_cmpx_o_i16 dst, src0, src1=
   v_cmpx_o_i16 \dst, \src0, \src1 
.endm

.macro _v_cmpx_o_i32 dst, src0, src1=
   v_cmpx_o_i32 \dst, \src0, \src1 
.endm

.macro _v_cmpx_o_i64 dst, src0, src1=
   v_cmpx_o_i64 \dst, \src0, \src1 
.endm

.macro _v_cmpx_o_u16 dst, src0, src1=
   v_cmpx_o_u16 \dst, \src0, \src1 
.endm

.macro _v_cmpx_o_u32 dst, src0, src1=
   v_cmpx_o_u32 \dst, \src0, \src1 
.endm

.macro _v_cmpx_o_u64 dst, src0, src1=
   v_cmpx_o_u64 \dst, \src0, \src1 
.endm

.macro _v_cmpx_u_i16 dst, src0, src1=
   v_cmpx_u_i16 \dst, \src0, \src1 
.endm

.macro _v_cmpx_u_i32 dst, src0, src1=
   v_cmpx_u_i32 \dst, \src0, \src1 
.endm

.macro _v_cmpx_u_i64 dst, src0, src1=
   v_cmpx_u_i64 \dst, \src0, \src1 
.endm

.macro _v_cmpx_u_u16 dst, src0, src1=
   v_cmpx_u_u16 \dst, \src0, \src1 
.endm

.macro _v_cmpx_u_u32 dst, src0, src1=
   v_cmpx_u_u32 \dst, \src0, \src1 
.endm

.macro _v_cmpx_u_u64 dst, src0, src1=
   v_cmpx_u_u64 \dst, \src0, \src1 
.endm
.macro _v_mac_f32 c:req, a:req, b:req
    v_fmac_f32 \c, \a, \b
.endmacro

/* scale global load macros */
.macro _s_load_b32 dst base offset
    s_load_dword \dst \base \offset
.endm

.macro _s_load_b64 dst base offset
    s_load_dwordx2 \dst \base \offset
.endm

.macro _s_load_b128 dst base offset
    s_load_dwordx4 \dst \base \offset
.endm

.macro _s_load_b256 dst base offset
    s_load_dwordx8 \dst \base \offset
.endm

.macro _s_load_b512 dst base offset
    s_load_dwordx16 \dst \base \offset
.endm


/* ds operation macros */
.macro _ds_load_u8 dst src offset
    ds_read_u8 \dst \src \offset
.endm

.macro _ds_load_u8_d16_hi dst src offset
    ds_read_u8_d16_hi \dst \src \offset
.endm

.macro _ds_load_u16 dst src offset
    ds_read_u16 \dst \src \offset
.endm

.macro _ds_load_u16_d16_hi dst src offset
    ds_read_u16_d16_hi \dst \src \offset
.endm

.macro _ds_load_b32 dst src offset
    ds_read_b32 \dst \src \offset
.endm

.macro _ds_load_b64 dst src offset
    ds_read_b64 \dst \src \offset
.endm

.macro _ds_load_b128 dst src offset
    ds_read_b128 \dst \src \offset
.endm

.macro _ds_store_b8 dst src offset
    ds_write_b8 \dst \src \offset
.endm

.macro _ds_store_b8_d16_hi dst src offset
    ds_write_b8_d16_hi \dst \src \offset
.endm

.macro _ds_store_b16 dst src offset
    ds_write_b16 \dst \src \offset
.endm

.macro _ds_store_b16_d16_hi dst src offset
    ds_write_b16_d16_hi \dst \src \offset
.endm

.macro _ds_store_b32 dst src offset
    ds_write_b32 \dst \src \offset
.endm

.macro _ds_store_b64 dst src offset
    ds_write_b64 \dst \src \offset
.endm

.macro _ds_store_b128 dst src offset
    ds_write_b128 \dst \src \offset
.endm

.macro _ds_load2_b32 dst src offset1 offset2
    ds_read2_b32 \dst \src \offset1 \offset2
.endm

.macro _ds_load2_b64 dst src offset1 offset2
    ds_read2_b64 \dst \src \offset1 \offset2
.endm

.macro _ds_store2_b32 dst src offset1 offset2
    ds_write2_b32 \dst \src \offset1 \offset2
.endm

.macro _ds_store2_b64 dst src offset1 offset2
    ds_write2_b64 \dst \src \offset1 \offset2
.endm


/* buffer memory operation macros */
.macro _buffer_load_b32 dst voffset base soffset offen ioffset md0 md1 md2
    buffer_load_dword \dst \voffset \base \soffset \offen \ioffset \md0 \md1 \md2
.endm

.macro _buffer_load_b64 dst voffset base soffset offen ioffset md0 md1 md2
    buffer_load_dwordx2 \dst \voffset \base \soffset \offen \ioffset \md0 \md1 \md2
.endm

.macro _buffer_load_b96 dst voffset base soffset offen ioffset md0 md1 md2
    buffer_load_dwordx3 \dst \voffset \base \soffset \offen \ioffset \md0 \md1 \md2
.endm

.macro _buffer_load_b128 dst voffset base soffset offen ioffset md0 md1 md2
    buffer_load_dwordx4 \dst \voffset \base \soffset \offen \ioffset \md0 \md1 \md2
.endm

.macro _buffer_load_d16_b16 dst voffset base soffset offen ioffset md0 md1 md2
    buffer_load_short_d16 \dst \voffset \base \soffset \offen \ioffset \md0 \md1 \md2
.endm

.macro _buffer_load_d16_hi_b16 dst voffset base soffset offen ioffset md0 md1 md2
    buffer_load_short_d16_hi \dst \voffset \base \soffset \offen \ioffset \md0 \md1 \md2
.endm

.macro _buffer_load_d16_u8 dst voffset base soffset offen ioffset md0 md1 md2
    buffer_load_ubyte_d16 \dst \voffset \base \soffset \offen \ioffset \md0 \md1 \md2
.endm

.macro _buffer_load_d16_hi_u8 dst voffset base soffset offen ioffset md0 md1 md2
    buffer_load_ubyte_d16_hi \dst \voffset \base \soffset \offen \ioffset \md0 \md1 \md2
.endm

.macro _buffer_load_u16 dst voffset base soffset offen ioffset md0 md1 md2
    buffer_load_ushort \dst \voffset \base \soffset \offen \ioffset \md0 \md1 \md2
.endm

.macro _buffer_load_b32_dtl voffset base soffset offen ioffset md0 md1 md2
    buffer_load_dword \voffset \base \soffset \offen \ioffset \md0 \md1 \md2
.endm

.macro _buffer_load_b64_dtl voffset base soffset offen ioffset md0 md1 md2
    buffer_load_dwordx2 \voffset \base \soffset \offen \ioffset \md0 \md1 \md2
.endm

.macro _buffer_load_b128_dtl voffset base soffset offen ioffset md0 md1 md2
    buffer_load_dwordx4 \voffset \base \soffset \offen \ioffset \md0 \md1 \md2
.endm

.macro _buffer_load_u16_dtl voffset base soffset offen ioffset md0 md1 md2
    buffer_load_ushort \voffset \base \soffset \offen \ioffset \md0 \md1 \md2
.endm

.macro _buffer_store_b32 src voffset base soffset offen ioffset md0 md1 md2
    buffer_store_dword \src \voffset \base \soffset \offen \ioffset \md0 \md1 \md2
.endm

.macro _buffer_store_b64 src voffset base soffset offen ioffset md0 md1 md2
    buffer_store_dwordx2 \src \voffset \base \soffset \offen \ioffset \md0 \md1 \md2
.endm

.macro _buffer_store_b96 src voffset base soffset offen ioffset md0 md1 md2
    buffer_store_dwordx3 \src \voffset \base \soffset \offen \ioffset \md0 \md1 \md2
.endm

.macro _buffer_store_b128 src voffset base soffset offen ioffset md0 md1 md2
    buffer_store_dwordx4 \src \voffset \base \soffset \offen \ioffset \md0 \md1 \md2
.endm

.macro _buffer_store_b16 src voffset base soffset offen ioffset md0 md1 md2
    buffer_store_short \src \voffset \base \soffset \offen \ioffset \md0 \md1 \md2
.endm

.macro _buffer_store_d16_hi_b16 src voffset base soffset offen ioffset md0 md1 md2
    buffer_store_short_d16_hi \src \voffset \base \soffset \offen \ioffset \md0 \md1 \md2
.endm

.macro _buffer_store_b8 src voffset base soffset offen ioffset md0 md1 md2
    buffer_store_byte \src \voffset \base \soffset \offen \ioffset \md0 \md1 \md2
.endm

.macro _buffer_store_d16_hi_b8 src voffset base soffset offen ioffset md0 md1 md2
    buffer_store_byte_d16_hi \src \voffset \base \soffset \offen \ioffset \md0 \md1 \md2
.endm

.macro _buffer_atomic_cmpswap_b32 dst voffset base soffset offen ioffset md0 md1 md2
    buffer_atomic_cmpswap \dst \voffset \base \soffset \offen \ioffset \md0 \md1 \md2
.endm

.macro _buffer_atomic_cmpswap_b64 dst voffset base soffset offen ioffset md0 md1 md2
    buffer_atomic_cmpswap_x2 \dst \voffset \base \soffset \offen \ioffset \md0 \md1 \md2
.endm


/* buffer memory operation macros */
.macro _global_load_b32 dst base src ioffset md0 md1 md2
    global_load_dword \dst \base \src \ioffset \md0 \md1 \md2
.endm

.macro _global_load_b64 dst base src ioffset md0 md1 md2
    global_load_dwordx2 \dst \base \src \ioffset \md0 \md1 \md2
.endm

.macro _global_load_b96 dst base src ioffset md0 md1 md2
    global_load_dwordx3 \dst \base \src \ioffset \md0 \md1 \md2
.endm

.macro _global_load_b128 dst base src ioffset md0 md1 md2
    global_load_dwordx4 \dst \base \src \ioffset \md0 \md1 \md2
.endm

.macro _global_load_d16_b16 dst base src ioffset md0 md1 md2
    global_load_short_d16 \dst \base \src \ioffset \md0 \md1 \md2
.endm

.macro _global_load_d16_hi_b16 dst base src ioffset md0 md1 md2
    global_load_short_d16_hi \dst \base \src \ioffset \md0 \md1 \md2
.endm

.macro _global_load_d16_u8 dst base src ioffset md0 md1 md2
    global_load_ubyte_d16 \dst \base \src \ioffset \md0 \md1 \md2
.endm

.macro _global_load_d16_hi_u8 dst base src ioffset md0 md1 md2
    global_load_ubyte_d16_hi \dst \base \src \ioffset \md0 \md1 \md2
.endm

.macro _global_load_u16 dst base src ioffset md0 md1 md2
    global_load_ushort \dst \base \src \ioffset \md0 \md1 \md2
.endm

.macro _global_store_b32 base src src2 md0 md1 md2
    global_store_dword \base \src \src2 \md0 \md1 \md2
.endm

.macro _global_store_b64 base src src2 md0 md1 md2
    global_store_dwordx2 \base \src \src2 \md0 \md1 \md2
.endm

.macro _global_store_b96 base src src2 md0 md1 md2
    global_store_dwordx3 \base \src \src2 \md0 \md1 \md2
.endm

.macro _global_store_b128 base src src2 md0 md1 md2
    global_store_dwordx4 \base \src \src2 \md0 \md1 \md2
.endm

.macro _global_store_d16_b16 base src src2 md0 md1 md2
    global_store_short \base \src \src2 \md0 \md1 \md2
.endm

.macro _global_store_d16_hi_b16 base src src2 md0 md1 md2
    global_store_short_d16_hi \base \src \src2 \md0 \md1 \md2
.endm

.macro _global_store_d16_u8 base src src2 md0 md1 md2
    global_store_ubyte_d16 \base \src \src2 \md0 \md1 \md2
.endm

.macro _global_store_d16_hi_u8 base src src2 md0 md1 md2
    global_store_ubyte_d16_hi \base \src \src2 \md0 \md1 \md2
.endm

.macro _global_store_u16 base src src2 md0 md1 md2
    global_store_ushort \base \src \src2 \md0 \md1 \md2
.endm

.macro _global_atomic_cmpswap_b32 tmp base data src ioffset md
    global_atomic_cmpswap \tmp \base \data \src \ioffset \md
.endm

.macro _global_atomic_cmpswap_b64 tmp base data src ioffset md
    global_atomic_cmpswap_x2 \tmp \base \data \src \ioffset \md
.endm


/******************************************/
/* Magic div and mod functions            */
/******************************************/
.macro V_MAGIC_DIV dstIdx:req, dividend:req, magicNumber:req, magicShift:req, magicA:req
    v_mul_hi_u32 v[\dstIdx+1], \dividend, \magicNumber
    v_mul_lo_u32 v[\dstIdx+0], \dividend, \magicA
    _v_add_u32 v[\dstIdx+0], v[\dstIdx+0], v[\dstIdx+1]
    v_lshrrev_b32 v[\dstIdx+0], \magicShift, v[\dstIdx+0]
.endm

/******************************************/
/* VGPR Assignments                       */
/******************************************/
/* ValuC range: [0-128),  */
.set vgprValuC, 0
/* ValuA/B   Xn=PLR buffer idx,  In=InnerUnroll idx */
.set vgprValuA_X0_I0, 128
.set vgprValuA_X1_I0, 136
.set vgprG2LA, 128
.set vgprValuB_X0_I0, 144
.set vgprValuB_X1_I0, 152
.set vgprG2LB, 144
.set vgprLocalWriteAddrA, 160
.set vgprLocalWriteAddrB, 161
.set vgprGlobalReadOffsetA, 162
.set vgprGlobalReadOffsetB, 166
.set vgprLocalReadAddrA, 170
.set vgprLocalReadAddrB, 171
.set vgprSerial, 172
/* Num VGPR=176 */
/* Num AccVGPR=0 */

/******************************************/
/* SGPR Assignments                       */
/******************************************/
.set sgprKernArgAddress, 0 // (2)
.set sgprWorkGroup0, 2 // (1)
.set sgprWorkGroup1, 3 // (1)
.set sgprWorkGroup2, 4 // (1)
.set sgprGSUSumIdx, 5 // (2)
.set sgprLoopCounterL, 7 // (1)
.set sgprOrigLoopCounter, 8 // (1)
.set sgprSrdA, 12 // (4)
.set sgprSrdB, 16 // (4)
.set sgprSrdD, 20 // (4)
.set sgprSrdC, 24 // (4)
.set sgprTensor2dSizeA, 28 // (2)
.set sgprTensor2dSizeB, 30 // (2)
.set sgprAddressD, 32 // (2)
.set sgprAddressC, 34 // (2)
.set sgprAddressA, 36 // (2)
.set sgprAddressB, 38 // (2)
.set sgprAlpha, 40 // (1)
.set sgprBeta, 41 // (1)
.set sgprStridesD, 42 // (2)
.set sgprStridesC, 44 // (2)
.set sgprStridesA, 46 // (2)
.set sgprStridesB, 48 // (2)
.set sgprSizesFree, 50 // (3)
.set sgprSizesSum, 53 // (1)
.set sgprOrigStaggerUIter, 54 // (1)
.set sgprNumWorkGroups0, 55 // (1)
.set sgprNumWorkGroups1, 56 // (1)
.set sgprNumFullBlocks, 57 // (1)
.set sgprWgmRemainder1, 58 // (1)
.set sgprMagicNumberWgmRemainder1, 59 // (1)
.set sgprShadowLimitA, 0 // (2)
.set sgprShadowLimitB, 36 // (2)
.set sgprStaggerUIter, 9 // (1)
.set sgprWrapUA, 38 // (2)
.set sgprWrapUB, 60 // (2)
.set sgprGlobalReadIncsA, 62 // (1)
.set sgprGlobalReadIncsB, 63 // (1)
/* max SGPR=86 */

/* Size Assignments */
.set sgprSizeI, sgprSizesFree+0
.set sgprSizeJ, sgprSizesFree+1
.set sgprSizeK, sgprSizesFree+2
.set sgprSizeL, sgprSizesSum+0

/* Stride Assignments */
.set constStrideD0I, 1
.set sgprStrideD1J, sgprStridesD+0
.set sgprStrideDK, sgprStridesD+1
.set constStrideC0I, 1
.set sgprStrideC1J, sgprStridesC+0
.set sgprStrideCK, sgprStridesC+1
.set constStrideA0I, 1
.set sgprStrideAL, sgprStridesA+0
.set sgprStrideAK, sgprStridesA+1
.set constStrideB1J, 1
.set sgprStrideBL, sgprStridesB+0
.set sgprStrideBK, sgprStridesB+1

.set MT0, 256
.set MT1, 256
.set DepthU, 32
.set GSU, 5
.set BpeA, 2
.set BpeALog2, 1
.set BpeB, 2
.set BpeBLog2, 1
/* Number of elements to shift-left SRD */
.set SrdShiftLeftA, 8
.set SrdShiftLeftB, 8
/* 2GB limit - set offsets to -1 to exceed this and clamp */
.set BufferLimitA, 0xffffffff
.set BufferLimitB, 0xffffffff
.set BufferOOB, 0xfffff000

/******************************************/
/* Bits 127:96 of SRD.                    */
/* hex: 0x00020000                        */
/* dst_sel_x (3b): 0                      */
/* dst_sel_y (3b): 0                      */
/* dst_sel_z (3b): 0                      */
/* dst_sel_w (3b): 0                      */
/* num_format (3b): 0                     */
/* data_format (4b): 4                    */
/* user_vm_enable (1b): 0                 */
/* user_vm_mode (1b): 0                   */
/* index_stride (2b): 0                   */
/* add_tid_enable (1b): 0                 */
/* _unusedA (3b): 0                       */
/* nv (1b): 0                             */
/* _unusedB (2b): 0                       */
/* type (2b): 0                           */
/******************************************/
.set Srd127_96, 0x00020000

/* Global Offset A */
.macro GLOBAL_OFFSET_A vgprAddr:req vgprOffset0I:req vgprOffsetL:req vgprTmp:req
v_mul_lo_u32 v[\vgprTmp+0], s[sgprStrideAL], v[\vgprOffsetL] // mul d1 lower
_v_add_co_u32 v[\vgprAddr+0], vcc, v[\vgprOffset0I], v[\vgprTmp+0] // accumulate K lower
_v_add_u32 v[\vgprAddr+0], 0x8, v[\vgprAddr+0]     // add prepad for pointer shift
v_lshlrev_b32 v[\vgprAddr+0], 0x1, v[\vgprAddr+0]  // offset *= bytes/element
.endm

/* Global Offset B */
.macro GLOBAL_OFFSET_B vgprAddr:req vgprOffset1J:req vgprOffsetL:req vgprTmp:req
v_mul_lo_u32 v[\vgprTmp+0], s[sgprStrideBL], v[\vgprOffsetL] // mul d1 lower
_v_add_co_u32 v[\vgprAddr+0], vcc, v[\vgprOffset1J], v[\vgprTmp+0] // accumulate K lower
_v_add_u32 v[\vgprAddr+0], 0x8, v[\vgprAddr+0]     // add prepad for pointer shift
v_lshlrev_b32 v[\vgprAddr+0], 0x1, v[\vgprAddr+0]  // offset *= bytes/element
.endm

/******************************************/
/* Dynamic Scalar Divide: vQuotient=vDividend/vDivisor; vRemainder=vDividend%vDivisor; */
/******************************************/
.macro DYNAMIC_VECTOR_DIVIDE vQuotient vRemainder vDividend vDivisor vTmp0 vTmp1 sTmp
v_cvt_f32_u32 v[\vQuotient], v[\vDivisor]          // 
v_rcp_f32 v[\vQuotient], v[\vQuotient]             // 
v_mul_f32 v[\vQuotient], 0x4f800000, v[\vQuotient] // 
v_cvt_u32_f32 v[\vQuotient], v[\vQuotient]         // 
v_mul_lo_u32 v[\vRemainder], v[\vDivisor], v[\vQuotient] // 
v_mul_hi_u32 v[\vTmp0], v[\vDivisor], v[\vQuotient] // 
_v_sub_co_u32 v[\vTmp1], vcc, 0x0, v[\vRemainder]  // 
v_cmp_ne_i32 s[\sTmp:\sTmp+1], 0x0, v[\vTmp0]      // 
v_cndmask_b32 v[\vRemainder], v[\vTmp1], v[\vRemainder], s[\sTmp:\sTmp+1] // 
v_mul_hi_u32 v[\vRemainder], v[\vRemainder], v[\vQuotient] // 
_v_sub_co_u32 v[\vTmp0], vcc, v[\vQuotient], v[\vRemainder] // 
_v_add_co_u32 v[\vQuotient], vcc, v[\vQuotient], v[\vRemainder] // 
v_cndmask_b32 v[\vQuotient], v[\vQuotient], v[\vTmp0], s[\sTmp:\sTmp+1] // 
v_mul_hi_u32 v[\vQuotient], v[\vQuotient], v[\vDividend] // 
v_mul_lo_u32 v[\vRemainder], v[\vQuotient], v[\vDivisor] // 
_v_sub_co_u32 v[\vTmp0], vcc, v[\vDividend], v[\vRemainder] // 
v_cmp_ge_u32 s[\sTmp:\sTmp+1], v[\vDividend], v[\vRemainder] // 
_v_add_co_u32 v[\vRemainder], vcc, 0x1, v[\vQuotient] // 
_v_add_co_u32 v[\vTmp1], vcc, -1, v[\vQuotient]    // 
v_cmp_le_u32 vcc, v[\vDivisor], v[\vTmp0]          // 
s_and_b64 vcc, s[\sTmp:\sTmp+1], vcc               // 
v_cndmask_b32 v[\vQuotient], v[\vQuotient], v[\vRemainder], vcc // 
v_cndmask_b32 v[\vQuotient], v[\vTmp1], v[\vQuotient], s[\sTmp:\sTmp+1] // 
v_cmp_ne_i32 vcc, 0x0, v[\vDivisor]                // 
v_cndmask_b32 v[\vQuotient], -1, v[\vQuotient], vcc // final result
v_mul_lo_u32 v[\vRemainder], v[\vQuotient], v[\vDivisor] // 
_v_sub_co_u32 v[\vRemainder], vcc, v[\vDividend], v[\vRemainder] // final result
.endm

/******************************************/
/* 16x16 thread-tile                      */
/******************************************/
.macro MAC_16x16_X0
// Component.MAC.FMA_F16_Packed
v_pk_fma_f16 v[vgprValuC + 0 + 0*16 + 0], v[vgprValuA_X0_I0 + 0], v[vgprValuB_X0_I0 + 0], v[vgprValuC + 0 + 0*16 + 0] op_sel:[0,0,0] op_sel_hi:[1,0,1] // 0
s_setprio 1 // Raise priority while processing macs
v_pk_fma_f16 v[vgprValuC + 0 + 0*16 + 8], v[vgprValuA_X0_I0 + 0], v[vgprValuB_X0_I0 + 0], v[vgprValuC + 0 + 0*16 + 8] op_sel:[0,1,0] op_sel_hi:[1,1,1] // 8
v_pk_fma_f16 v[vgprValuC + 1 + 0*16 + 0], v[vgprValuA_X0_I0 + 1], v[vgprValuB_X0_I0 + 0], v[vgprValuC + 1 + 0*16 + 0] op_sel:[0,0,0] op_sel_hi:[1,0,1] // 1
	;; [unrolled: 1-line block ×127, first 2 shown]
s_setprio 0 // Reset priority after macs
.endm
.macro MAC_16x16_X1
// Component.MAC.FMA_F16_Packed
v_pk_fma_f16 v[vgprValuC + 0 + 0*16 + 0], v[vgprValuA_X1_I0 + 0], v[vgprValuB_X1_I0 + 0], v[vgprValuC + 0 + 0*16 + 0] op_sel:[0,0,0] op_sel_hi:[1,0,1] // 0
s_setprio 1 // Raise priority while processing macs
v_pk_fma_f16 v[vgprValuC + 0 + 0*16 + 8], v[vgprValuA_X1_I0 + 0], v[vgprValuB_X1_I0 + 0], v[vgprValuC + 0 + 0*16 + 8] op_sel:[0,1,0] op_sel_hi:[1,1,1] // 8
v_pk_fma_f16 v[vgprValuC + 1 + 0*16 + 0], v[vgprValuA_X1_I0 + 1], v[vgprValuB_X1_I0 + 0], v[vgprValuC + 1 + 0*16 + 0] op_sel:[0,0,0] op_sel_hi:[1,0,1] // 1
	;; [unrolled: 1-line block ×127, first 2 shown]
s_setprio 0 // Reset priority after macs
.endm


	;; [unrolled: 1-line block ×3, first 2 shown]
/******************************************/
/* Allocate Resources                     */
/******************************************/

Cijk_Ailk_Bjlk_HB_MT256x256x32_SN_AF0EM2_AMAS3_ASEM2_BL1_DTLA0_DTLB0_EPS0_FL1_GLVWA8_GLVWB8_GRVW8_GSU5_ISA906_K1_KLA_LPA0_LPB0_LRVW4_MMFGLC_NLCA1_NLCB1_PGR0_PLR1_SUS256_TT16_16_USFGRO0_VAW2_VS1_VW4_VWB4_WS64_WG16_16_1_WGM8_preloaded: // Kernel start when preloading

/* Load Kernel Args */
_s_load_b512 s[28:43], s[sgprKernArgAddress:sgprKernArgAddress+1], 0x0 // 
_s_load_b512 s[44:59], s[sgprKernArgAddress:sgprKernArgAddress+1], 0x40 // 
s_mov_b32 m0, 0x8000                               // LDS clamp at 32768 bytes
v_mov_b32 v[vgprSerial], v0                        // thread serial id

/******************************************/
/* Local Read Addresses                   */
/******************************************/


/* local read addresses: tile assignments a/b */

/*lr0I = serial % SG0I*/
v_lshrrev_b32 v0, 4, v[vgprSerial]                 // v0 = v[vgprSerial] / 16
v_and_b32 v1, 15, v[vgprSerial]                    // v1 = v[vgprSerial] % 16
/*lr1J = (serial / SG1J) % SG1J*/
v_lshrrev_b32 v2, 4, v0                            // v2 = v0 / 16
v_and_b32 v3, 15, v0                               // v3 = v0 % 16


/* local read addresses: final offsets a */

v_lshrrev_b32 v0, 8, v[vgprSerial]                 // LSU offset: sgid = Serial / subGroup(256)
v_lshlrev_b32 v0, 0x8, v0                          // LSU offset: lsuoffset = sgid*(MT0+PAD)
v_lshlrev_b32 v1, 0x2, v1                          // Final Offset: lrAOffset * VW
_v_add_lshl_u32 v[vgprLocalReadAddrA], v0, v1, 0x1 // Final Offset: offset = (lro0*VW+lsuoffset)*bpe


/* local read addresses: final offsets b */

v_lshrrev_b32 v0, 8, v[vgprSerial]                 // LSU offset: sgid = Serial / subGroup(256)
v_lshlrev_b32 v0, 0x8, v0                          // LSU offset: lsuoffset = sgid*(MT1+PAD)
v_lshlrev_b32 v3, 0x2, v3                          // Final Offset: lrBOffset * VW
_v_add_lshl_u32 v[vgprLocalReadAddrB], v0, v3, 0x1 // Final Offset: offset = (lro1*VW+lsuoffset)*bpe


/* local read addresses: declare addresses a */

/* N/A */


/* local read addresses: declare addresses b */

_v_add_co_u32 v[vgprLocalReadAddrB+0], vcc, 0x4000, v[vgprLocalReadAddrB+0] //  += LdsOffsetB (lower)


/* global read addresses: tile offset assignment a */

/* LVCA = 32 */
/* v0 = (local)groA-tile = serial%LVCA (note (wgA*MTA) will be added to SRD) */
/* v1 = groA-unroll = serial/LVCA */
v_lshrrev_b32 v1, 5, v[vgprSerial]                 // v1 = v[vgprSerial] / 32
v_and_b32 v0, 31, v[vgprSerial]                    // v0 = v[vgprSerial] % 32
/* gro-tile *= glvw */
v_lshlrev_b32 v0, 0x3, v0                          // v0 = v0 * 8
v_mov_b32 v2, v1                                   // copy for GlobalSplitU


/* global read addresses: tile offset assignment b */

/* LVCB = 32 */
/* v3 = (local)groB-tile = serial%LVCB (note (wgB*MTB) will be added to SRD) */
/* v4 = groB-unroll = serial/LVCB */
v_lshrrev_b32 v4, 5, v[vgprSerial]                 // v4 = v[vgprSerial] / 32
v_and_b32 v3, 31, v[vgprSerial]                    // v3 = v[vgprSerial] % 32
/* gro-tile *= glvw */
v_lshlrev_b32 v3, 0x3, v3                          // v3 = v3 * 8
v_mov_b32 v5, v4                                   // copy for GlobalSplitU


/******************************************/
/* Local Write Addresses                  */
/******************************************/

/* lwaTileAssignmentA = v0 */

/* lwaTileAssignmentB = v3 */

/* lwaUnrollAssignmentA = v2 */

/* lwaUnrollAssignmentB = v5 */


/* local write addresses: first offset a */

v_mul_u32_u24 v[vgprLocalWriteAddrA], 0x100, v2    // lwAL**(MTA + PAD)
_v_add_lshl_u32 v[vgprLocalWriteAddrA], v0, v[vgprLocalWriteAddrA], 0x1 // lwFOA = (lwAA + lwAL*(MT0I+PAD))*bpe


/* local write addresses: first offset b */

v_mul_u32_u24 v[vgprLocalWriteAddrB], 0x100, v5    // lwBL**(MTB + PAD)
_v_add_lshl_u32 v[vgprLocalWriteAddrB], v3, v[vgprLocalWriteAddrB], 0x1 // lwFOB = (lwBB + lwBL*(MT1J+PAD))*bpe
_v_add_co_u32 v[vgprLocalWriteAddrB], vcc, 0x4000, v[vgprLocalWriteAddrB] // lwFOB = lwB1J + lwBL*MT1J + LDS_OFFSET_B=8192*2


	;; [unrolled: 1-line block ×7, first 2 shown]
s_waitcnt lgkmcnt(0)                               // wait for 128 bytes of kern args
s_sub_u32 s[sgprSrdA+0], s[sgprAddressA+0], 16     // pre-pad to make room for possible pointer shift
s_subb_u32 s[sgprSrdA+1], s[sgprAddressA+1], 0     // pre-pad to make room for possible pointer shift
s_sub_u32 s[sgprSrdB+0], s[sgprAddressB+0], 16     // pre-pad to make room for possible pointer shift
s_subb_u32 s[sgprSrdB+1], s[sgprAddressB+1], 0     // pre-pad to make room for possible pointer shift

.set AddressA, UNDEF
.set AddressB, UNDEF

/* Short circuit condition if Alpha == 0, then sumDims=0 */
v_cmp_eq_f32 vcc, s[sgprAlpha], 0.0                // Alpha == 0.0f ?
s_cbranch_vccz label_AlphaNonZero                  // branch if alpha != 0
s_mov_b32 s[sgprSizesSum+0], 0x0                   // Set summation dim=0 if Alpha == 0
label_AlphaNonZero:


	;; [unrolled: 1-line block ×3, first 2 shown]
/******************************************/
/* Begin setupNewTile, isPap=False           */
/******************************************/


/* global read addresses: work-group */

/* graWorkGroup mapping */
// GSU-not-WGMapRR :nwg1 = (size1J + MT1J - 1) / MT1J;
s_mov_b32 s66, s[sgprWorkGroup1]                   // copying for divisor
s_mov_b32 s65, 0x0                                 // STATIC_DIV: divisior=5
s_mul_i32 s64, 0x6666, s66                         // tmp1 = dividend * magic hi
s_lshl_b64 s[64:65], s[64:65], 0x10                // left shift 16 bits
s_mul_i32 s[sgprWorkGroup1], s66, 0x6667           // tmp0 = dividend * magic lo
s_add_u32 s64, s[sgprWorkGroup1], s64              // add lo
s_addc_u32 s65, s65, 0x0                           // add hi
s_lshr_b64 s[64:65], s[64:65], 0x21                // tmp1 = (dividend * magic) << shift
s_mov_b32 s[sgprWorkGroup1], s64                   // quotient
s_mul_i32 s64, s[sgprWorkGroup1], 0x5              // quotient*divisor
s_sub_u32 s[sgprGSUSumIdx], s66, s64               // rReg = dividend - quotient*divisor
s_mov_b32 s67, 0x10000001L                         // magic number for WGM==8
s_mul_hi_u32 s65, s[sgprWorkGroup1], s67           // s_magic mul
s_mul_i32 s64, s[sgprWorkGroup1], s67              // s_magic mul
s_lshr_b64 s[64:65], s[64:65], 31                  // sMagicDiv
s_mul_i32 s65, s64, 8                              // quotient * non-magic divisor
s_sub_u32 s65, s[sgprWorkGroup1], s65              // WorkGroup1=remainder
s_mul_i32 s65, s65, s[sgprNumWorkGroups0]          // (wg1 % WGM)*nwg0
s_add_u32 s65, s65, s[sgprWorkGroup0]              // wgSerial = wg0 + (wg1 % WGM)*nwg1
s_cmp_ge_u32 s64, s[sgprNumFullBlocks]             // blockId >= numFullBlocks ?
s_cmov_b32 s67, s[sgprMagicNumberWgmRemainder1]    // 
s_cselect_b32 s66, s[sgprWgmRemainder1], 8         // 
s_mul_hi_u32 s3, s65, s67                          // s_magic mul
s_mul_i32 s2, s65, s67                             // s_magic mul
s_lshr_b64 s[2:3], s[2:3], 31                      // sMagicDiv
s_mul_i32 s[sgprWorkGroup1], s[sgprWorkGroup0], s66 // quotient * non-magic divisor
s_sub_u32 s[sgprWorkGroup1], s65, s[sgprWorkGroup1] // WorkGroup1=remainder
s_mul_i32 s64, s64, 8                              // blockId * WGM
s_add_u32 s[sgprWorkGroup1], s[sgprWorkGroup1], s64 // wg1 += blockId * WGM


/* global read addresses: unroll assignment a */

/* v1 */


/* global read addresses: unroll assignment b */

/* v4 */


/* global read addresses: other free assignments */

/* s[sgprWorkGroup2] */


/* global read addresses: tile offsets a */

v_mov_b32 v6, v0                                   // groA0I_0


/* global read addresses: tile offsets b */

v_mov_b32 v7, v3                                   // groB1J_0


/* global read addresses: unroll offsets a */

v_mov_b32 v8, v1                                   // groAL_0
_v_add_co_u32 v9, vcc, 8, v8                       // groAL_1 + LSPA
_v_add_co_u32 v10, vcc, 8, v9                      // groAL_2 + LSPA
_v_add_co_u32 v11, vcc, 8, v10                     // groAL_3 + LSPA


/* global read addresses: unroll offsets b */

v_mov_b32 v12, v4                                  // groBL_0
_v_add_co_u32 v13, vcc, 8, v12                     // groBL_1 + LSPB
_v_add_co_u32 v14, vcc, 8, v13                     // groBL_2 + LSPB
_v_add_co_u32 v15, vcc, 8, v14                     // groBL_3 + LSPB


/* global read addresses: shift a */

s_mul_i32 s64, s[sgprWorkGroup0], 256              // WorkGroup[01] * MT
s_sub_u32 s64, s[sgprSizeI], s64                   // edge = Size0I - WG*MT
s_sub_u32 s64, s64, 8                              // edge -= margin(8)
v_mov_b32 v16, s64                                 // edge vgpr = Size0I- WG*MT - margin(8)
v_min_i32 v6, v16, v6                              // offset = (offset < edge) ? offset(v6) : edge(v16)


/* global read addresses: shift b */

s_mul_i32 s64, s[sgprWorkGroup1], 256              // WorkGroup[01] * MT
s_sub_u32 s64, s[sgprSizeJ], s64                   // edge = Size1J - WG*MT
s_sub_u32 s64, s64, 8                              // edge -= margin(8)
v_mov_b32 v16, s64                                 // edge vgpr = Size1J- WG*MT - margin(8)
v_min_i32 v7, v16, v7                              // offset = (offset < edge) ? offset(v7) : edge(v16)


/* global read addresses: final offsets a */

GLOBAL_OFFSET_A vgprGlobalReadOffsetA+0,  6,  8, 16 // gROA_0_0_0_0
GLOBAL_OFFSET_A vgprGlobalReadOffsetA+1,  6,  9, 16 // gROA_0_0_1_0
GLOBAL_OFFSET_A vgprGlobalReadOffsetA+2,  6, 10, 16 // gROA_0_0_2_0
GLOBAL_OFFSET_A vgprGlobalReadOffsetA+3,  6, 11, 16 // gROA_0_0_3_0


/* global read addresses: final offsets b */

GLOBAL_OFFSET_B vgprGlobalReadOffsetB+0,  7, 12, 8 // gROB_0_0_0_0
GLOBAL_OFFSET_B vgprGlobalReadOffsetB+1,  7, 13, 8 // gROB_0_0_1_0
GLOBAL_OFFSET_B vgprGlobalReadOffsetB+2,  7, 14, 8 // gROB_0_0_2_0
GLOBAL_OFFSET_B vgprGlobalReadOffsetB+3,  7, 15, 8 // gROB_0_0_3_0


/* global read addresses: addresses a */

/* max read offset = size[n] * stride[n-1] */
s_mul_hi_u32 s67, s[sgprWorkGroup0], 256           // WorkGroup[01] * MT
s_mul_i32 s66, s[sgprWorkGroup0], 256              // WorkGroup[01] * MT
s_mul_hi_u32 s65, 32, s[sgprGSUSumIdx]             // gsuOffset = DepthU*bpe*GSUSumIdx
s_mul_i32 s64, 32, s[sgprGSUSumIdx]                // gsuOffset = DepthU*bpe*GSUSumIdx
s_mul_hi_u32 s65, s64, s[sgprStrideAL]             // tlu=1, scaled unroll-offset by stride
s_mul_i32 s64, s64, s[sgprStrideAL]                // tlu=1, scaled unroll-offset by stride
s_add_u32 s66, s66, s64                            // accum GsuOffset term to tilestart
s_addc_u32 s67, s67, s65                           // accum GsuOffset term to tilestart
s_sub_u32 s[sgprShadowLimitA+0], s[sgprTensor2dSizeA], s66 // sub tileStart
s_subb_u32 s[sgprShadowLimitA+1], s[sgprTensor2dSizeA+1], s67 // sub tileStart
s_lshl_b64 s[sgprShadowLimitA:sgprShadowLimitA+1], s[sgprShadowLimitA:sgprShadowLimitA+1], 0x1 // Set limit to use bytes
s_add_u32 s[sgprShadowLimitA+0], s[sgprShadowLimitA+0], 16 // extend limit for pre-pad
s_addc_u32 s[sgprShadowLimitA+1], s[sgprShadowLimitA+1], 0 // extend limit for pre-pad
s_cmp_eq_u32 s[sgprShadowLimitA+1], 0              // are we within 2^32?
s_cselect_b32 s[sgprSrdA+2], s[sgprShadowLimitA+0], BufferLimitA // Move shadow to real if we are within 2^32
s_mul_hi_u32 s65, s[sgprStrideAK], s[sgprWorkGroup2] // Stride*WG
s_mul_i32 s64, s[sgprStrideAK], s[sgprWorkGroup2]  // Stride*WG
s_add_u32 s66, s66, s64                            // accum wg term to tilestart
s_addc_u32 s67, s67, s65                           // accum wg term to tilestart
s_lshl_b64 s[66:67], s[66:67], 0x1                 // tileStart *= BPE
s_add_u32 s[sgprSrdA+0], s[sgprSrdA+0], s66        // SRD base = Address+ tileStart0
s_addc_u32 s[sgprSrdA+1], s[sgprSrdA+1], s67       // SRD base = Address+ tileStart1
s_mov_b32 s[sgprSrdA+3], Srd127_96                 // Set bits 127_96 in SRD


/* global read addresses: addresses b */

/* max read offset = size[n] * stride[n-1] */
s_mul_hi_u32 s67, s[sgprWorkGroup1], 256           // WorkGroup[01] * MT
s_mul_i32 s66, s[sgprWorkGroup1], 256              // WorkGroup[01] * MT
s_mul_hi_u32 s65, 32, s[sgprGSUSumIdx]             // gsuOffset = DepthU*bpe*GSUSumIdx
s_mul_i32 s64, 32, s[sgprGSUSumIdx]                // gsuOffset = DepthU*bpe*GSUSumIdx
s_mul_hi_u32 s65, s64, s[sgprStrideBL]             // tlu=1, scaled unroll-offset by stride
s_mul_i32 s64, s64, s[sgprStrideBL]                // tlu=1, scaled unroll-offset by stride
s_add_u32 s66, s66, s64                            // accum GsuOffset term to tilestart
s_addc_u32 s67, s67, s65                           // accum GsuOffset term to tilestart
s_sub_u32 s[sgprShadowLimitB+0], s[sgprTensor2dSizeB], s66 // sub tileStart
s_subb_u32 s[sgprShadowLimitB+1], s[sgprTensor2dSizeB+1], s67 // sub tileStart
s_lshl_b64 s[sgprShadowLimitB:sgprShadowLimitB+1], s[sgprShadowLimitB:sgprShadowLimitB+1], 0x1 // Set limit to use bytes
s_add_u32 s[sgprShadowLimitB+0], s[sgprShadowLimitB+0], 16 // extend limit for pre-pad
s_addc_u32 s[sgprShadowLimitB+1], s[sgprShadowLimitB+1], 0 // extend limit for pre-pad
s_cmp_eq_u32 s[sgprShadowLimitB+1], 0              // are we within 2^32?
s_cselect_b32 s[sgprSrdB+2], s[sgprShadowLimitB+0], BufferLimitB // Move shadow to real if we are within 2^32
s_mul_hi_u32 s65, s[sgprStrideBK], s[sgprWorkGroup2] // Stride*WG
s_mul_i32 s64, s[sgprStrideBK], s[sgprWorkGroup2]  // Stride*WG
s_add_u32 s66, s66, s64                            // accum wg term to tilestart
s_addc_u32 s67, s67, s65                           // accum wg term to tilestart
s_lshl_b64 s[66:67], s[66:67], 0x1                 // tileStart *= BPE
s_add_u32 s[sgprSrdB+0], s[sgprSrdB+0], s66        // SRD base = Address+ tileStart0
s_addc_u32 s[sgprSrdB+1], s[sgprSrdB+1], s67       // SRD base = Address+ tileStart1
s_mov_b32 s[sgprSrdB+3], Srd127_96                 // Set bits 127_96 in SRD


/* global read addresses: increments a */

s_mul_i32 s[sgprGlobalReadIncsA+0], DepthU*BpeA*5, s[sgprStrideAL] // incrA unrollIdx)


/* global read addresses: increments b */

s_mul_i32 s[sgprGlobalReadIncsB+0], DepthU*BpeB*5, s[sgprStrideBL] // incrB unrollIdx)

/* declare loop num iterations */


	;; [unrolled: 1-line block ×3, first 2 shown]
/* initC: remove C-tile 0-128 from pool */

/* initC: remove AB-tile 128-160 from pool */
v_mov_b32 v[vgprValuC+0], 0x0                      // initC
v_mov_b32 v[vgprValuC+1], 0x0                      // initC
	;; [unrolled: 1-line block ×10, first 2 shown]
v_mov_b32 v[vgprValuC+10], 0x0                     // initC
v_mov_b32 v[vgprValuC+11], 0x0                     // initC
	;; [unrolled: 1-line block ×90, first 2 shown]
v_mov_b32 v[vgprValuC+100], 0x0                    // initC
v_mov_b32 v[vgprValuC+101], 0x0                    // initC
	;; [unrolled: 1-line block ×28, first 2 shown]

s_lshr_b32 s[sgprLoopCounterL], s[sgprSizesSum+0], 5 // s[sgprLoopCounterL] = s[sgprSizesSum+0] / 32
v_mov_b32 v175, s[sgprLoopCounterL]                // copy for divide IterGsu
s_mov_b32 s64, 0x66666667                          // v173 = v175 / 5
v_mul_hi_u32 v173, v175, s64                       // v173 = v175 / 5
v_lshrrev_b32 v173, 0x1, v173                      // v173 = v175 / 5
s_mov_b32 s64, 0x5                                 // v174 = v175 % 5
v_mul_lo_u32 v174, v173, s64                       // v174 = v175 % 5
_v_sub_u32 v174, v175, v174                        // v174 = v175 % 5
v_readfirstlane_b32 s[sgprLoopCounterL], v173      // 
v_readfirstlane_b32 s[sgprGSUSumIdx+1], v174       // 
s_add_u32 s64, 1, s[sgprLoopCounterL]              // tmp<-numIterMyWg+
s_cmp_lt_u32 s[sgprGSUSumIdx], s[sgprGSUSumIdx+1]  // gsuSumIdx < numIterPerWgRemainder
s_cmov_b32 s[sgprLoopCounterL], s64                // numIterMyWg++ if needed
s_mov_b32 s[sgprOrigLoopCounter], s[sgprLoopCounterL] // copy loop counter

s_and_b32 s[sgprStaggerUIter], s[sgprOrigStaggerUIter], s[sgprWorkGroup0] // Compute actual stagger start for this tile
s_lshl_b32 s[sgprStaggerUIter], s[sgprStaggerUIter], 2 // shift by StaggerUStride


/* SRDs += (StaggerUIter) * GlobalReadIncsA+0 */
s_mul_hi_u32 s65, s[sgprStaggerUIter], s[sgprGlobalReadIncsA+0] //  stagger byte offset
s_mul_i32 s64, s[sgprStaggerUIter], s[sgprGlobalReadIncsA+0] //  stagger byte offset
s_mul_hi_u32 s[sgprWrapUA+1], s[sgprLoopCounterL], s[sgprGlobalReadIncsA+0] // Number of bytes accessed by the unroll loop
s_mul_i32 s[sgprWrapUA+0], s[sgprLoopCounterL], s[sgprGlobalReadIncsA+0] // Number of bytes accessed by the unroll loop
s_sub_u32 s[sgprWrapUA+0], s[sgprGlobalReadIncsA+0], s[sgprWrapUA+0] // remove one iteration
s_subb_u32 s[sgprWrapUA+1], 0, s[sgprWrapUA+1]     // remove one iteration
s_add_u32 s[sgprSrdA+0], s[sgprSrdA+0], s64        // gra SRD += inc(lower)
s_addc_u32  s[sgprSrdA+1], s[sgprSrdA+1], s65      // gra SRD += inc(upper)
s_sub_u32 s[sgprShadowLimitA+0], s[sgprShadowLimitA+0], s64 // limit -= inc)
s_subb_u32 s[sgprShadowLimitA+1], s[sgprShadowLimitA+1], s65 // limit -= inc)
s_cmp_eq_u32 s[sgprShadowLimitA+1], 0              // are we within 2^32?
s_cselect_b32 s[sgprSrdA+2], s[sgprShadowLimitA+0], BufferLimitA // Move shadow to real if we are within 2^32


/* SRDs += (StaggerUIter) * GlobalReadIncsB+0 */
s_mul_hi_u32 s65, s[sgprStaggerUIter], s[sgprGlobalReadIncsB+0] //  stagger byte offset
s_mul_i32 s64, s[sgprStaggerUIter], s[sgprGlobalReadIncsB+0] //  stagger byte offset
s_mul_hi_u32 s[sgprWrapUB+1], s[sgprLoopCounterL], s[sgprGlobalReadIncsB+0] // Number of bytes accessed by the unroll loop
s_mul_i32 s[sgprWrapUB+0], s[sgprLoopCounterL], s[sgprGlobalReadIncsB+0] // Number of bytes accessed by the unroll loop
s_sub_u32 s[sgprWrapUB+0], s[sgprGlobalReadIncsB+0], s[sgprWrapUB+0] // remove one iteration
s_subb_u32 s[sgprWrapUB+1], 0, s[sgprWrapUB+1]     // remove one iteration
s_add_u32 s[sgprSrdB+0], s[sgprSrdB+0], s64        // gra SRD += inc(lower)
s_addc_u32  s[sgprSrdB+1], s[sgprSrdB+1], s65      // gra SRD += inc(upper)
s_sub_u32 s[sgprShadowLimitB+0], s[sgprShadowLimitB+0], s64 // limit -= inc)
s_subb_u32 s[sgprShadowLimitB+1], s[sgprShadowLimitB+1], s65 // limit -= inc)
s_cmp_eq_u32 s[sgprShadowLimitB+1], 0              // are we within 2^32?
s_cselect_b32 s[sgprSrdB+2], s[sgprShadowLimitB+0], BufferLimitB // Move shadow to real if we are within 2^32
s_add_u32 s[sgprStaggerUIter], s[sgprStaggerUIter], 1 // Subtract (PGR-1); StaggerUIter now contains target iteration to wrap

/* local read addresses: init pointers a */


/* localReadInitPointers */

/* local read addresses: init pointers b */


/* localReadInitPointers */


/******************************************/
/* End setupNewTile, isPap=False             */
/******************************************/


/******************************************/
/* Unrolled Loop(s) - Begin               */
/******************************************/

openLoopL_10:
s_cmp_le_u32 s[sgprLoopCounterL], 0x0              // LoopCounterL < EndCounter
s_cbranch_scc1 LoopEndL_2                          // do not enter LoopL
LoopBeginL_1:


/******************************************/
/* Unrolled Loop 1/1 - Begin              */
/******************************************/

label_0011: // LoopCopy1 


/* Begin Each Unroll: Check VGPR.checkin for INT8 LW */

_buffer_load_b128 v[vgprG2LA+0:vgprG2LA+0+3], v[vgprGlobalReadOffsetA+0], s[sgprSrdA:sgprSrdA+3], 0, offen offset:0 // G -> Reg 0_0_0_0
_buffer_load_b128 v[vgprG2LA+4:vgprG2LA+4+3], v[vgprGlobalReadOffsetA+1], s[sgprSrdA:sgprSrdA+3], 0, offen offset:0 // G -> Reg 0_0_1_0
_buffer_load_b128 v[vgprG2LA+8:vgprG2LA+8+3], v[vgprGlobalReadOffsetA+2], s[sgprSrdA:sgprSrdA+3], 0, offen offset:0 // G -> Reg 0_0_2_0
_buffer_load_b128 v[vgprG2LA+12:vgprG2LA+12+3], v[vgprGlobalReadOffsetA+3], s[sgprSrdA:sgprSrdA+3], 0, offen offset:0 // G -> Reg 0_0_3_0
_buffer_load_b128 v[vgprG2LB+0:vgprG2LB+0+3], v[vgprGlobalReadOffsetB+0], s[sgprSrdB:sgprSrdB+3], 0, offen offset:0 // G -> Reg 0_0_0_0
_buffer_load_b128 v[vgprG2LB+4:vgprG2LB+4+3], v[vgprGlobalReadOffsetB+1], s[sgprSrdB:sgprSrdB+3], 0, offen offset:0 // G -> Reg 0_0_1_0
_buffer_load_b128 v[vgprG2LB+8:vgprG2LB+8+3], v[vgprGlobalReadOffsetB+2], s[sgprSrdB:sgprSrdB+3], 0, offen offset:0 // G -> Reg 0_0_2_0
_buffer_load_b128 v[vgprG2LB+12:vgprG2LB+12+3], v[vgprGlobalReadOffsetB+3], s[sgprSrdB:sgprSrdB+3], 0, offen offset:0 // G -> Reg 0_0_3_0

/* global read inc A loopL */
s_cmp_eq_u32 s[sgprLoopCounterL], s[sgprStaggerUIter] // Is this the wrapIter?
s_cselect_b32 s64, s[sgprWrapUA+0], s[sgprGlobalReadIncsA+0] // incLower <- ?
s_cselect_b32 s65, s[sgprWrapUA+1], 0              // incUpper <- ?
s_add_u32 s[sgprSrdA+0], s[sgprSrdA+0], s64        // gra SRD += inc(lower)
s_addc_u32  s[sgprSrdA+1], s[sgprSrdA+1], s65      // gra SRD += inc(upper)
s_sub_u32 s[sgprShadowLimitA+0], s[sgprShadowLimitA+0], s64 // limit -= inc)
s_subb_u32 s[sgprShadowLimitA+1], s[sgprShadowLimitA+1], s65 // limit -= inc)
s_cmp_eq_u32 s[sgprShadowLimitA+1], 0              // are we within 2^32?
s_cselect_b32 s[sgprSrdA+2], s[sgprShadowLimitA+0], BufferLimitA // Move shadow to real if we are within 2^32

/* global read inc B loopL */
s_cmp_eq_u32 s[sgprLoopCounterL], s[sgprStaggerUIter] // Is this the wrapIter?
s_cselect_b32 s64, s[sgprWrapUB+0], s[sgprGlobalReadIncsB+0] // incLower <- ?
s_cselect_b32 s65, s[sgprWrapUB+1], 0              // incUpper <- ?
s_add_u32 s[sgprSrdB+0], s[sgprSrdB+0], s64        // gra SRD += inc(lower)
s_addc_u32  s[sgprSrdB+1], s[sgprSrdB+1], s65      // gra SRD += inc(upper)
s_sub_u32 s[sgprShadowLimitB+0], s[sgprShadowLimitB+0], s64 // limit -= inc)
s_subb_u32 s[sgprShadowLimitB+1], s[sgprShadowLimitB+1], s65 // limit -= inc)
s_cmp_eq_u32 s[sgprShadowLimitB+1], 0              // are we within 2^32?
s_cselect_b32 s[sgprSrdB+2], s[sgprShadowLimitB+0], BufferLimitB // Move shadow to real if we are within 2^32

s_waitcnt vmcnt(0)                                 // lgkmcnt=-1 vmcnt=05wait for global read

s_barrier //PGR=0, prior iter done reading lds


/* local write a */

_ds_store_b128 v[vgprLocalWriteAddrA], v[vgprG2LA+0:vgprG2LA+0+3] offset:0 // lwoA_0_0_0_0 = (0*LSCA) + (0*LSPA)(*MT0I+PAD) = 0
_ds_store_b128 v[vgprLocalWriteAddrA], v[vgprG2LA+4:vgprG2LA+4+3] offset:4096 // lwoA_0_0_1_0 = (0*LSCA) + (1*LSPA)(*MT0I+PAD) = 4096
_ds_store_b128 v[vgprLocalWriteAddrA], v[vgprG2LA+8:vgprG2LA+8+3] offset:8192 // lwoA_0_0_2_0 = (0*LSCA) + (2*LSPA)(*MT0I+PAD) = 8192
_ds_store_b128 v[vgprLocalWriteAddrA], v[vgprG2LA+12:vgprG2LA+12+3] offset:12288 // lwoA_0_0_3_0 = (0*LSCA) + (3*LSPA)(*MT0I+PAD) = 12288


/* local write b */

_ds_store_b128 v[vgprLocalWriteAddrB], v[vgprG2LB+0:vgprG2LB+0+3] offset:0 // lwoB_0_0_0_0 = (0*LSCB) + (0*LSPB)(*MT1J+PAD) = 0
_ds_store_b128 v[vgprLocalWriteAddrB], v[vgprG2LB+4:vgprG2LB+4+3] offset:4096 // lwoB_0_0_1_0 = (0*LSCB) + (1*LSPB)(*MT1J+PAD) = 4096
_ds_store_b128 v[vgprLocalWriteAddrB], v[vgprG2LB+8:vgprG2LB+8+3] offset:8192 // lwoB_0_0_2_0 = (0*LSCB) + (2*LSPB)(*MT1J+PAD) = 8192
_ds_store_b128 v[vgprLocalWriteAddrB], v[vgprG2LB+12:vgprG2LB+12+3] offset:12288 // lwoB_0_0_3_0 = (0*LSCB) + (3*LSPB)(*MT1J+PAD) = 12288

s_waitcnt lgkmcnt(0)                               // lgkmcnt=0 vmcnt=-12prefetch wait for local write

s_barrier //


/* prefetch local a */

_ds_load_b64 v[vgprValuA_X0_I0+0:vgprValuA_X0_I0+0+1], v[vgprLocalReadAddrA] offset:0 // L -> Reg lro=0 swapByteOffset=0 ti=16 vIdx=0 rIdx=0 oIdx=0 buffer=0 iui=0
_ds_load_b64 v[vgprValuA_X0_I0+2:vgprValuA_X0_I0+2+1], v[vgprLocalReadAddrA] offset:128 // L -> Reg lro=0 swapByteOffset=0 ti=16 vIdx=1 rIdx=0 oIdx=0 buffer=0 iui=0
	;; [unrolled: 1-line block ×4, first 2 shown]


/* prefetch local b */

_ds_load_b64 v[vgprValuB_X0_I0+0:vgprValuB_X0_I0+0+1], v[vgprLocalReadAddrB] offset:0 // L -> Reg lro=0 swapByteOffset=0 ti=16 vIdx=0 rIdx=0 oIdx=0 buffer=0 iui=0
_ds_load_b64 v[vgprValuB_X0_I0+2:vgprValuB_X0_I0+2+1], v[vgprLocalReadAddrB] offset:128 // L -> Reg lro=0 swapByteOffset=0 ti=16 vIdx=1 rIdx=0 oIdx=0 buffer=0 iui=0
	;; [unrolled: 1-line block ×4, first 2 shown]

/* local read increment a */

/* N/A, lro->256 */
/* self.localReadDoCntA 0 self.localReadDoCntB 0 */

/* local read increment b */

/* N/A, lro->256 */
/* self.localReadDoCntA 0 self.localReadDoCntB 0 */


/* iter 0 */


/* local read a */
_ds_load_b64 v[vgprValuA_X1_I0+0:vgprValuA_X1_I0+0+1], v[vgprLocalReadAddrA] offset:512 // L -> Reg lro=256 swapByteOffset=0 ti=16 vIdx=0 rIdx=0 oIdx=0 buffer=1 iui=0
_ds_load_b64 v[vgprValuA_X1_I0+2:vgprValuA_X1_I0+2+1], v[vgprLocalReadAddrA] offset:640 // L -> Reg lro=256 swapByteOffset=0 ti=16 vIdx=1 rIdx=0 oIdx=0 buffer=1 iui=0
	;; [unrolled: 1-line block ×4, first 2 shown]

/* local read b */
_ds_load_b64 v[vgprValuB_X1_I0+0:vgprValuB_X1_I0+0+1], v[vgprLocalReadAddrB] offset:512 // L -> Reg lro=256 swapByteOffset=0 ti=16 vIdx=0 rIdx=0 oIdx=0 buffer=1 iui=0
_ds_load_b64 v[vgprValuB_X1_I0+2:vgprValuB_X1_I0+2+1], v[vgprLocalReadAddrB] offset:640 // L -> Reg lro=256 swapByteOffset=0 ti=16 vIdx=1 rIdx=0 oIdx=0 buffer=1 iui=0
	;; [unrolled: 1-line block ×4, first 2 shown]

/* local read increment a */
/* N/A, lro->512 */
/* self.localReadDoCntA 0 self.localReadDoCntB 0 */

/* local read increment b */
/* N/A, lro->512 */
/* self.localReadDoCntA 0 self.localReadDoCntB 0 */
s_waitcnt lgkmcnt(8)                               // lgkmcnt=0 vmcnt=-1wait for prior local read local write old=0, new=8 newLW=0 newLR=0
.align32 8, 0xbf800001                             // align v_pk_fma
MAC_16x16_X0

/* iter 1 */


/* local read a */
_ds_load_b64 v[vgprValuA_X0_I0+0:vgprValuA_X0_I0+0+1], v[vgprLocalReadAddrA] offset:1024 // L -> Reg lro=512 swapByteOffset=0 ti=16 vIdx=0 rIdx=0 oIdx=0 buffer=0 iui=0
_ds_load_b64 v[vgprValuA_X0_I0+2:vgprValuA_X0_I0+2+1], v[vgprLocalReadAddrA] offset:1152 // L -> Reg lro=512 swapByteOffset=0 ti=16 vIdx=1 rIdx=0 oIdx=0 buffer=0 iui=0
	;; [unrolled: 1-line block ×4, first 2 shown]

/* local read b */
_ds_load_b64 v[vgprValuB_X0_I0+0:vgprValuB_X0_I0+0+1], v[vgprLocalReadAddrB] offset:1024 // L -> Reg lro=512 swapByteOffset=0 ti=16 vIdx=0 rIdx=0 oIdx=0 buffer=0 iui=0
_ds_load_b64 v[vgprValuB_X0_I0+2:vgprValuB_X0_I0+2+1], v[vgprLocalReadAddrB] offset:1152 // L -> Reg lro=512 swapByteOffset=0 ti=16 vIdx=1 rIdx=0 oIdx=0 buffer=0 iui=0
	;; [unrolled: 1-line block ×4, first 2 shown]

/* local read increment a */
/* N/A, lro->768 */
/* self.localReadDoCntA 0 self.localReadDoCntB 0 */

/* local read increment b */
/* N/A, lro->768 */
/* self.localReadDoCntA 0 self.localReadDoCntB 0 */
s_waitcnt lgkmcnt(8)                               // lgkmcnt=0 vmcnt=-1wait for prior local read local write old=0, new=8 newLW=0 newLR=0
.align32 8, 0xbf800001                             // align v_pk_fma
MAC_16x16_X1

/* iter 2 */


/* local read a */
_ds_load_b64 v[vgprValuA_X1_I0+0:vgprValuA_X1_I0+0+1], v[vgprLocalReadAddrA] offset:1536 // L -> Reg lro=768 swapByteOffset=0 ti=16 vIdx=0 rIdx=0 oIdx=0 buffer=1 iui=0
_ds_load_b64 v[vgprValuA_X1_I0+2:vgprValuA_X1_I0+2+1], v[vgprLocalReadAddrA] offset:1664 // L -> Reg lro=768 swapByteOffset=0 ti=16 vIdx=1 rIdx=0 oIdx=0 buffer=1 iui=0
_ds_load_b64 v[vgprValuA_X1_I0+4:vgprValuA_X1_I0+4+1], v[vgprLocalReadAddrA] offset:1792 // L -> Reg lro=768 swapByteOffset=0 ti=16 vIdx=2 rIdx=0 oIdx=0 buffer=1 iui=0
_ds_load_b64 v[vgprValuA_X1_I0+6:vgprValuA_X1_I0+6+1], v[vgprLocalReadAddrA] offset:1920 // L -> Reg lro=768 swapByteOffset=0 ti=16 vIdx=3 rIdx=0 oIdx=0 buffer=1 iui=0

/* local read b */
_ds_load_b64 v[vgprValuB_X1_I0+0:vgprValuB_X1_I0+0+1], v[vgprLocalReadAddrB] offset:1536 // L -> Reg lro=768 swapByteOffset=0 ti=16 vIdx=0 rIdx=0 oIdx=0 buffer=1 iui=0
_ds_load_b64 v[vgprValuB_X1_I0+2:vgprValuB_X1_I0+2+1], v[vgprLocalReadAddrB] offset:1664 // L -> Reg lro=768 swapByteOffset=0 ti=16 vIdx=1 rIdx=0 oIdx=0 buffer=1 iui=0
	;; [unrolled: 1-line block ×4, first 2 shown]

/* local read increment a */
/* N/A, lro->1024 */
/* self.localReadDoCntA 0 self.localReadDoCntB 0 */

/* local read increment b */
/* N/A, lro->1024 */
/* self.localReadDoCntA 0 self.localReadDoCntB 0 */
s_waitcnt lgkmcnt(8)                               // lgkmcnt=0 vmcnt=-1wait for prior local read local write old=0, new=8 newLW=0 newLR=0
.align32 8, 0xbf800001                             // align v_pk_fma
MAC_16x16_X0

/* iter 3 */


/* local read a */
_ds_load_b64 v[vgprValuA_X0_I0+0:vgprValuA_X0_I0+0+1], v[vgprLocalReadAddrA] offset:2048 // L -> Reg lro=1024 swapByteOffset=0 ti=16 vIdx=0 rIdx=0 oIdx=0 buffer=0 iui=0
_ds_load_b64 v[vgprValuA_X0_I0+2:vgprValuA_X0_I0+2+1], v[vgprLocalReadAddrA] offset:2176 // L -> Reg lro=1024 swapByteOffset=0 ti=16 vIdx=1 rIdx=0 oIdx=0 buffer=0 iui=0
	;; [unrolled: 1-line block ×4, first 2 shown]

/* local read b */
_ds_load_b64 v[vgprValuB_X0_I0+0:vgprValuB_X0_I0+0+1], v[vgprLocalReadAddrB] offset:2048 // L -> Reg lro=1024 swapByteOffset=0 ti=16 vIdx=0 rIdx=0 oIdx=0 buffer=0 iui=0
_ds_load_b64 v[vgprValuB_X0_I0+2:vgprValuB_X0_I0+2+1], v[vgprLocalReadAddrB] offset:2176 // L -> Reg lro=1024 swapByteOffset=0 ti=16 vIdx=1 rIdx=0 oIdx=0 buffer=0 iui=0
_ds_load_b64 v[vgprValuB_X0_I0+4:vgprValuB_X0_I0+4+1], v[vgprLocalReadAddrB] offset:2304 // L -> Reg lro=1024 swapByteOffset=0 ti=16 vIdx=2 rIdx=0 oIdx=0 buffer=0 iui=0
_ds_load_b64 v[vgprValuB_X0_I0+6:vgprValuB_X0_I0+6+1], v[vgprLocalReadAddrB] offset:2432 // L -> Reg lro=1024 swapByteOffset=0 ti=16 vIdx=3 rIdx=0 oIdx=0 buffer=0 iui=0

/* local read increment a */
/* N/A, lro->1280 */
/* self.localReadDoCntA 0 self.localReadDoCntB 0 */

/* local read increment b */
/* N/A, lro->1280 */
/* self.localReadDoCntA 0 self.localReadDoCntB 0 */
s_waitcnt lgkmcnt(8)                               // lgkmcnt=0 vmcnt=-1wait for prior local read local write old=0, new=8 newLW=0 newLR=0
.align32 8, 0xbf800001                             // align v_pk_fma
MAC_16x16_X1

/* iter 4 */


/* local read a */
_ds_load_b64 v[vgprValuA_X1_I0+0:vgprValuA_X1_I0+0+1], v[vgprLocalReadAddrA] offset:2560 // L -> Reg lro=1280 swapByteOffset=0 ti=16 vIdx=0 rIdx=0 oIdx=0 buffer=1 iui=0
_ds_load_b64 v[vgprValuA_X1_I0+2:vgprValuA_X1_I0+2+1], v[vgprLocalReadAddrA] offset:2688 // L -> Reg lro=1280 swapByteOffset=0 ti=16 vIdx=1 rIdx=0 oIdx=0 buffer=1 iui=0
	;; [unrolled: 1-line block ×4, first 2 shown]

/* local read b */
_ds_load_b64 v[vgprValuB_X1_I0+0:vgprValuB_X1_I0+0+1], v[vgprLocalReadAddrB] offset:2560 // L -> Reg lro=1280 swapByteOffset=0 ti=16 vIdx=0 rIdx=0 oIdx=0 buffer=1 iui=0
_ds_load_b64 v[vgprValuB_X1_I0+2:vgprValuB_X1_I0+2+1], v[vgprLocalReadAddrB] offset:2688 // L -> Reg lro=1280 swapByteOffset=0 ti=16 vIdx=1 rIdx=0 oIdx=0 buffer=1 iui=0
	;; [unrolled: 1-line block ×4, first 2 shown]

/* local read increment a */
/* N/A, lro->1536 */
/* self.localReadDoCntA 0 self.localReadDoCntB 0 */

/* local read increment b */
/* N/A, lro->1536 */
/* self.localReadDoCntA 0 self.localReadDoCntB 0 */
s_waitcnt lgkmcnt(8)                               // lgkmcnt=0 vmcnt=-1wait for prior local read local write old=0, new=8 newLW=0 newLR=0
.align32 8, 0xbf800001                             // align v_pk_fma
MAC_16x16_X0

/* iter 5 */


/* local read a */
_ds_load_b64 v[vgprValuA_X0_I0+0:vgprValuA_X0_I0+0+1], v[vgprLocalReadAddrA] offset:3072 // L -> Reg lro=1536 swapByteOffset=0 ti=16 vIdx=0 rIdx=0 oIdx=0 buffer=0 iui=0
_ds_load_b64 v[vgprValuA_X0_I0+2:vgprValuA_X0_I0+2+1], v[vgprLocalReadAddrA] offset:3200 // L -> Reg lro=1536 swapByteOffset=0 ti=16 vIdx=1 rIdx=0 oIdx=0 buffer=0 iui=0
	;; [unrolled: 1-line block ×4, first 2 shown]

/* local read b */
_ds_load_b64 v[vgprValuB_X0_I0+0:vgprValuB_X0_I0+0+1], v[vgprLocalReadAddrB] offset:3072 // L -> Reg lro=1536 swapByteOffset=0 ti=16 vIdx=0 rIdx=0 oIdx=0 buffer=0 iui=0
_ds_load_b64 v[vgprValuB_X0_I0+2:vgprValuB_X0_I0+2+1], v[vgprLocalReadAddrB] offset:3200 // L -> Reg lro=1536 swapByteOffset=0 ti=16 vIdx=1 rIdx=0 oIdx=0 buffer=0 iui=0
	;; [unrolled: 1-line block ×4, first 2 shown]

/* local read increment a */
/* N/A, lro->1792 */
/* self.localReadDoCntA 0 self.localReadDoCntB 0 */

/* local read increment b */
/* N/A, lro->1792 */
/* self.localReadDoCntA 0 self.localReadDoCntB 0 */
s_waitcnt lgkmcnt(8)                               // lgkmcnt=0 vmcnt=-1wait for prior local read local write old=0, new=8 newLW=0 newLR=0
.align32 8, 0xbf800001                             // align v_pk_fma
MAC_16x16_X1

/* iter 6 */


/* local read a */
_ds_load_b64 v[vgprValuA_X1_I0+0:vgprValuA_X1_I0+0+1], v[vgprLocalReadAddrA] offset:3584 // L -> Reg lro=1792 swapByteOffset=0 ti=16 vIdx=0 rIdx=0 oIdx=0 buffer=1 iui=0
_ds_load_b64 v[vgprValuA_X1_I0+2:vgprValuA_X1_I0+2+1], v[vgprLocalReadAddrA] offset:3712 // L -> Reg lro=1792 swapByteOffset=0 ti=16 vIdx=1 rIdx=0 oIdx=0 buffer=1 iui=0
	;; [unrolled: 1-line block ×4, first 2 shown]

/* local read b */
_ds_load_b64 v[vgprValuB_X1_I0+0:vgprValuB_X1_I0+0+1], v[vgprLocalReadAddrB] offset:3584 // L -> Reg lro=1792 swapByteOffset=0 ti=16 vIdx=0 rIdx=0 oIdx=0 buffer=1 iui=0
_ds_load_b64 v[vgprValuB_X1_I0+2:vgprValuB_X1_I0+2+1], v[vgprLocalReadAddrB] offset:3712 // L -> Reg lro=1792 swapByteOffset=0 ti=16 vIdx=1 rIdx=0 oIdx=0 buffer=1 iui=0
	;; [unrolled: 1-line block ×4, first 2 shown]

/* local read increment a */
/* N/A, lro->2048 */
/* self.localReadDoCntA 0 self.localReadDoCntB 0 */

/* local read increment b */
/* N/A, lro->2048 */
/* self.localReadDoCntA 0 self.localReadDoCntB 0 */
s_waitcnt lgkmcnt(8)                               // lgkmcnt=0 vmcnt=-1wait for prior local read local write old=0, new=8 newLW=0 newLR=0
.align32 8, 0xbf800001                             // align v_pk_fma
MAC_16x16_X0

/* iter 7 */


/* local read a */
_ds_load_b64 v[vgprValuA_X0_I0+0:vgprValuA_X0_I0+0+1], v[vgprLocalReadAddrA] offset:4096 // L -> Reg lro=2048 swapByteOffset=0 ti=16 vIdx=0 rIdx=0 oIdx=0 buffer=0 iui=0
_ds_load_b64 v[vgprValuA_X0_I0+2:vgprValuA_X0_I0+2+1], v[vgprLocalReadAddrA] offset:4224 // L -> Reg lro=2048 swapByteOffset=0 ti=16 vIdx=1 rIdx=0 oIdx=0 buffer=0 iui=0
	;; [unrolled: 1-line block ×4, first 2 shown]

/* local read b */
_ds_load_b64 v[vgprValuB_X0_I0+0:vgprValuB_X0_I0+0+1], v[vgprLocalReadAddrB] offset:4096 // L -> Reg lro=2048 swapByteOffset=0 ti=16 vIdx=0 rIdx=0 oIdx=0 buffer=0 iui=0
_ds_load_b64 v[vgprValuB_X0_I0+2:vgprValuB_X0_I0+2+1], v[vgprLocalReadAddrB] offset:4224 // L -> Reg lro=2048 swapByteOffset=0 ti=16 vIdx=1 rIdx=0 oIdx=0 buffer=0 iui=0
	;; [unrolled: 1-line block ×4, first 2 shown]

/* local read increment a */
/* N/A, lro->2304 */
/* self.localReadDoCntA 0 self.localReadDoCntB 0 */

/* local read increment b */
/* N/A, lro->2304 */
/* self.localReadDoCntA 0 self.localReadDoCntB 0 */
s_waitcnt lgkmcnt(8)                               // lgkmcnt=0 vmcnt=-1wait for prior local read local write old=0, new=8 newLW=0 newLR=0
.align32 8, 0xbf800001                             // align v_pk_fma
MAC_16x16_X1

/* iter 8 */


/* local read a */
_ds_load_b64 v[vgprValuA_X1_I0+0:vgprValuA_X1_I0+0+1], v[vgprLocalReadAddrA] offset:4608 // L -> Reg lro=2304 swapByteOffset=0 ti=16 vIdx=0 rIdx=0 oIdx=0 buffer=1 iui=0
_ds_load_b64 v[vgprValuA_X1_I0+2:vgprValuA_X1_I0+2+1], v[vgprLocalReadAddrA] offset:4736 // L -> Reg lro=2304 swapByteOffset=0 ti=16 vIdx=1 rIdx=0 oIdx=0 buffer=1 iui=0
	;; [unrolled: 1-line block ×4, first 2 shown]

/* local read b */
_ds_load_b64 v[vgprValuB_X1_I0+0:vgprValuB_X1_I0+0+1], v[vgprLocalReadAddrB] offset:4608 // L -> Reg lro=2304 swapByteOffset=0 ti=16 vIdx=0 rIdx=0 oIdx=0 buffer=1 iui=0
_ds_load_b64 v[vgprValuB_X1_I0+2:vgprValuB_X1_I0+2+1], v[vgprLocalReadAddrB] offset:4736 // L -> Reg lro=2304 swapByteOffset=0 ti=16 vIdx=1 rIdx=0 oIdx=0 buffer=1 iui=0
	;; [unrolled: 1-line block ×4, first 2 shown]

/* local read increment a */
/* N/A, lro->2560 */
/* self.localReadDoCntA 0 self.localReadDoCntB 0 */

/* local read increment b */
/* N/A, lro->2560 */
/* self.localReadDoCntA 0 self.localReadDoCntB 0 */
s_waitcnt lgkmcnt(8)                               // lgkmcnt=0 vmcnt=-1wait for prior local read local write old=0, new=8 newLW=0 newLR=0
.align32 8, 0xbf800001                             // align v_pk_fma
MAC_16x16_X0

/* iter 9 */


/* local read a */
_ds_load_b64 v[vgprValuA_X0_I0+0:vgprValuA_X0_I0+0+1], v[vgprLocalReadAddrA] offset:5120 // L -> Reg lro=2560 swapByteOffset=0 ti=16 vIdx=0 rIdx=0 oIdx=0 buffer=0 iui=0
_ds_load_b64 v[vgprValuA_X0_I0+2:vgprValuA_X0_I0+2+1], v[vgprLocalReadAddrA] offset:5248 // L -> Reg lro=2560 swapByteOffset=0 ti=16 vIdx=1 rIdx=0 oIdx=0 buffer=0 iui=0
	;; [unrolled: 1-line block ×4, first 2 shown]

/* local read b */
_ds_load_b64 v[vgprValuB_X0_I0+0:vgprValuB_X0_I0+0+1], v[vgprLocalReadAddrB] offset:5120 // L -> Reg lro=2560 swapByteOffset=0 ti=16 vIdx=0 rIdx=0 oIdx=0 buffer=0 iui=0
_ds_load_b64 v[vgprValuB_X0_I0+2:vgprValuB_X0_I0+2+1], v[vgprLocalReadAddrB] offset:5248 // L -> Reg lro=2560 swapByteOffset=0 ti=16 vIdx=1 rIdx=0 oIdx=0 buffer=0 iui=0
	;; [unrolled: 1-line block ×4, first 2 shown]

/* local read increment a */
/* N/A, lro->2816 */
/* self.localReadDoCntA 0 self.localReadDoCntB 0 */

/* local read increment b */
/* N/A, lro->2816 */
/* self.localReadDoCntA 0 self.localReadDoCntB 0 */
s_waitcnt lgkmcnt(8)                               // lgkmcnt=0 vmcnt=-1wait for prior local read local write old=0, new=8 newLW=0 newLR=0
.align32 8, 0xbf800001                             // align v_pk_fma
MAC_16x16_X1

/* iter 10 */


/* local read a */
_ds_load_b64 v[vgprValuA_X1_I0+0:vgprValuA_X1_I0+0+1], v[vgprLocalReadAddrA] offset:5632 // L -> Reg lro=2816 swapByteOffset=0 ti=16 vIdx=0 rIdx=0 oIdx=0 buffer=1 iui=0
_ds_load_b64 v[vgprValuA_X1_I0+2:vgprValuA_X1_I0+2+1], v[vgprLocalReadAddrA] offset:5760 // L -> Reg lro=2816 swapByteOffset=0 ti=16 vIdx=1 rIdx=0 oIdx=0 buffer=1 iui=0
	;; [unrolled: 1-line block ×4, first 2 shown]

/* local read b */
_ds_load_b64 v[vgprValuB_X1_I0+0:vgprValuB_X1_I0+0+1], v[vgprLocalReadAddrB] offset:5632 // L -> Reg lro=2816 swapByteOffset=0 ti=16 vIdx=0 rIdx=0 oIdx=0 buffer=1 iui=0
_ds_load_b64 v[vgprValuB_X1_I0+2:vgprValuB_X1_I0+2+1], v[vgprLocalReadAddrB] offset:5760 // L -> Reg lro=2816 swapByteOffset=0 ti=16 vIdx=1 rIdx=0 oIdx=0 buffer=1 iui=0
	;; [unrolled: 1-line block ×4, first 2 shown]

/* local read increment a */
/* N/A, lro->3072 */
/* self.localReadDoCntA 0 self.localReadDoCntB 0 */

/* local read increment b */
/* N/A, lro->3072 */
/* self.localReadDoCntA 0 self.localReadDoCntB 0 */
s_waitcnt lgkmcnt(8)                               // lgkmcnt=0 vmcnt=-1wait for prior local read local write old=0, new=8 newLW=0 newLR=0
.align32 8, 0xbf800001                             // align v_pk_fma
MAC_16x16_X0

/* iter 11 */


/* local read a */
_ds_load_b64 v[vgprValuA_X0_I0+0:vgprValuA_X0_I0+0+1], v[vgprLocalReadAddrA] offset:6144 // L -> Reg lro=3072 swapByteOffset=0 ti=16 vIdx=0 rIdx=0 oIdx=0 buffer=0 iui=0
_ds_load_b64 v[vgprValuA_X0_I0+2:vgprValuA_X0_I0+2+1], v[vgprLocalReadAddrA] offset:6272 // L -> Reg lro=3072 swapByteOffset=0 ti=16 vIdx=1 rIdx=0 oIdx=0 buffer=0 iui=0
	;; [unrolled: 1-line block ×4, first 2 shown]

/* local read b */
_ds_load_b64 v[vgprValuB_X0_I0+0:vgprValuB_X0_I0+0+1], v[vgprLocalReadAddrB] offset:6144 // L -> Reg lro=3072 swapByteOffset=0 ti=16 vIdx=0 rIdx=0 oIdx=0 buffer=0 iui=0
_ds_load_b64 v[vgprValuB_X0_I0+2:vgprValuB_X0_I0+2+1], v[vgprLocalReadAddrB] offset:6272 // L -> Reg lro=3072 swapByteOffset=0 ti=16 vIdx=1 rIdx=0 oIdx=0 buffer=0 iui=0
	;; [unrolled: 1-line block ×4, first 2 shown]

/* local read increment a */
/* N/A, lro->3328 */
/* self.localReadDoCntA 0 self.localReadDoCntB 0 */

/* local read increment b */
/* N/A, lro->3328 */
/* self.localReadDoCntA 0 self.localReadDoCntB 0 */
s_waitcnt lgkmcnt(8)                               // lgkmcnt=0 vmcnt=-1wait for prior local read local write old=0, new=8 newLW=0 newLR=0
.align32 8, 0xbf800001                             // align v_pk_fma
MAC_16x16_X1

/* iter 12 */


/* local read a */
_ds_load_b64 v[vgprValuA_X1_I0+0:vgprValuA_X1_I0+0+1], v[vgprLocalReadAddrA] offset:6656 // L -> Reg lro=3328 swapByteOffset=0 ti=16 vIdx=0 rIdx=0 oIdx=0 buffer=1 iui=0
_ds_load_b64 v[vgprValuA_X1_I0+2:vgprValuA_X1_I0+2+1], v[vgprLocalReadAddrA] offset:6784 // L -> Reg lro=3328 swapByteOffset=0 ti=16 vIdx=1 rIdx=0 oIdx=0 buffer=1 iui=0
	;; [unrolled: 1-line block ×4, first 2 shown]

/* local read b */
_ds_load_b64 v[vgprValuB_X1_I0+0:vgprValuB_X1_I0+0+1], v[vgprLocalReadAddrB] offset:6656 // L -> Reg lro=3328 swapByteOffset=0 ti=16 vIdx=0 rIdx=0 oIdx=0 buffer=1 iui=0
_ds_load_b64 v[vgprValuB_X1_I0+2:vgprValuB_X1_I0+2+1], v[vgprLocalReadAddrB] offset:6784 // L -> Reg lro=3328 swapByteOffset=0 ti=16 vIdx=1 rIdx=0 oIdx=0 buffer=1 iui=0
	;; [unrolled: 1-line block ×4, first 2 shown]

/* local read increment a */
/* N/A, lro->3584 */
/* self.localReadDoCntA 0 self.localReadDoCntB 0 */

/* local read increment b */
/* N/A, lro->3584 */
/* self.localReadDoCntA 0 self.localReadDoCntB 0 */
s_waitcnt lgkmcnt(8)                               // lgkmcnt=0 vmcnt=-1wait for prior local read local write old=0, new=8 newLW=0 newLR=0
.align32 8, 0xbf800001                             // align v_pk_fma
MAC_16x16_X0

/* iter 13 */


/* local read a */
_ds_load_b64 v[vgprValuA_X0_I0+0:vgprValuA_X0_I0+0+1], v[vgprLocalReadAddrA] offset:7168 // L -> Reg lro=3584 swapByteOffset=0 ti=16 vIdx=0 rIdx=0 oIdx=0 buffer=0 iui=0
_ds_load_b64 v[vgprValuA_X0_I0+2:vgprValuA_X0_I0+2+1], v[vgprLocalReadAddrA] offset:7296 // L -> Reg lro=3584 swapByteOffset=0 ti=16 vIdx=1 rIdx=0 oIdx=0 buffer=0 iui=0
	;; [unrolled: 1-line block ×4, first 2 shown]

/* local read b */
_ds_load_b64 v[vgprValuB_X0_I0+0:vgprValuB_X0_I0+0+1], v[vgprLocalReadAddrB] offset:7168 // L -> Reg lro=3584 swapByteOffset=0 ti=16 vIdx=0 rIdx=0 oIdx=0 buffer=0 iui=0
_ds_load_b64 v[vgprValuB_X0_I0+2:vgprValuB_X0_I0+2+1], v[vgprLocalReadAddrB] offset:7296 // L -> Reg lro=3584 swapByteOffset=0 ti=16 vIdx=1 rIdx=0 oIdx=0 buffer=0 iui=0
	;; [unrolled: 1-line block ×4, first 2 shown]

/* local read increment a */
/* N/A, lro->3840 */
/* self.localReadDoCntA 0 self.localReadDoCntB 0 */

/* local read increment b */
/* N/A, lro->3840 */
/* self.localReadDoCntA 0 self.localReadDoCntB 0 */
s_waitcnt lgkmcnt(8)                               // lgkmcnt=0 vmcnt=-1wait for prior local read local write old=0, new=8 newLW=0 newLR=0
.align32 8, 0xbf800001                             // align v_pk_fma
MAC_16x16_X1

/* iter 14 */


/* local read a */
_ds_load_b64 v[vgprValuA_X1_I0+0:vgprValuA_X1_I0+0+1], v[vgprLocalReadAddrA] offset:7680 // L -> Reg lro=3840 swapByteOffset=0 ti=16 vIdx=0 rIdx=0 oIdx=0 buffer=1 iui=0
_ds_load_b64 v[vgprValuA_X1_I0+2:vgprValuA_X1_I0+2+1], v[vgprLocalReadAddrA] offset:7808 // L -> Reg lro=3840 swapByteOffset=0 ti=16 vIdx=1 rIdx=0 oIdx=0 buffer=1 iui=0
	;; [unrolled: 1-line block ×4, first 2 shown]

/* local read b */
_ds_load_b64 v[vgprValuB_X1_I0+0:vgprValuB_X1_I0+0+1], v[vgprLocalReadAddrB] offset:7680 // L -> Reg lro=3840 swapByteOffset=0 ti=16 vIdx=0 rIdx=0 oIdx=0 buffer=1 iui=0
_ds_load_b64 v[vgprValuB_X1_I0+2:vgprValuB_X1_I0+2+1], v[vgprLocalReadAddrB] offset:7808 // L -> Reg lro=3840 swapByteOffset=0 ti=16 vIdx=1 rIdx=0 oIdx=0 buffer=1 iui=0
	;; [unrolled: 1-line block ×4, first 2 shown]

/* local read increment a */
/* N/A, lro->4096 */
/* self.localReadDoCntA 0 self.localReadDoCntB 0 */

/* local read increment b */
/* N/A, lro->4096 */
/* self.localReadDoCntA 0 self.localReadDoCntB 0 */
s_waitcnt lgkmcnt(8)                               // lgkmcnt=0 vmcnt=-1wait for prior local read local write old=0, new=8 newLW=0 newLR=0
.align32 8, 0xbf800001                             // align v_pk_fma
MAC_16x16_X0

/* iter 15 */


/* local read a */
_ds_load_b64 v[vgprValuA_X0_I0+0:vgprValuA_X0_I0+0+1], v[vgprLocalReadAddrA] offset:8192 // L -> Reg lro=4096 swapByteOffset=0 ti=16 vIdx=0 rIdx=0 oIdx=0 buffer=0 iui=0
_ds_load_b64 v[vgprValuA_X0_I0+2:vgprValuA_X0_I0+2+1], v[vgprLocalReadAddrA] offset:8320 // L -> Reg lro=4096 swapByteOffset=0 ti=16 vIdx=1 rIdx=0 oIdx=0 buffer=0 iui=0
	;; [unrolled: 1-line block ×4, first 2 shown]

/* local read b */
_ds_load_b64 v[vgprValuB_X0_I0+0:vgprValuB_X0_I0+0+1], v[vgprLocalReadAddrB] offset:8192 // L -> Reg lro=4096 swapByteOffset=0 ti=16 vIdx=0 rIdx=0 oIdx=0 buffer=0 iui=0
_ds_load_b64 v[vgprValuB_X0_I0+2:vgprValuB_X0_I0+2+1], v[vgprLocalReadAddrB] offset:8320 // L -> Reg lro=4096 swapByteOffset=0 ti=16 vIdx=1 rIdx=0 oIdx=0 buffer=0 iui=0
_ds_load_b64 v[vgprValuB_X0_I0+4:vgprValuB_X0_I0+4+1], v[vgprLocalReadAddrB] offset:8448 // L -> Reg lro=4096 swapByteOffset=0 ti=16 vIdx=2 rIdx=0 oIdx=0 buffer=0 iui=0
_ds_load_b64 v[vgprValuB_X0_I0+6:vgprValuB_X0_I0+6+1], v[vgprLocalReadAddrB] offset:8576 // L -> Reg lro=4096 swapByteOffset=0 ti=16 vIdx=3 rIdx=0 oIdx=0 buffer=0 iui=0

/* local read increment a */
/* N/A, lro->4352 */
/* self.localReadDoCntA 0 self.localReadDoCntB 0 */

/* local read increment b */
/* N/A, lro->4352 */
/* self.localReadDoCntA 0 self.localReadDoCntB 0 */
s_waitcnt lgkmcnt(8)                               // lgkmcnt=0 vmcnt=-1wait for prior local read local write old=0, new=8 newLW=0 newLR=0
.align32 8, 0xbf800001                             // align v_pk_fma
MAC_16x16_X1

/* iter 16 */


/* local read a */
_ds_load_b64 v[vgprValuA_X1_I0+0:vgprValuA_X1_I0+0+1], v[vgprLocalReadAddrA] offset:8704 // L -> Reg lro=4352 swapByteOffset=0 ti=16 vIdx=0 rIdx=0 oIdx=0 buffer=1 iui=0
_ds_load_b64 v[vgprValuA_X1_I0+2:vgprValuA_X1_I0+2+1], v[vgprLocalReadAddrA] offset:8832 // L -> Reg lro=4352 swapByteOffset=0 ti=16 vIdx=1 rIdx=0 oIdx=0 buffer=1 iui=0
	;; [unrolled: 1-line block ×4, first 2 shown]

/* local read b */
_ds_load_b64 v[vgprValuB_X1_I0+0:vgprValuB_X1_I0+0+1], v[vgprLocalReadAddrB] offset:8704 // L -> Reg lro=4352 swapByteOffset=0 ti=16 vIdx=0 rIdx=0 oIdx=0 buffer=1 iui=0
_ds_load_b64 v[vgprValuB_X1_I0+2:vgprValuB_X1_I0+2+1], v[vgprLocalReadAddrB] offset:8832 // L -> Reg lro=4352 swapByteOffset=0 ti=16 vIdx=1 rIdx=0 oIdx=0 buffer=1 iui=0
	;; [unrolled: 1-line block ×4, first 2 shown]

/* local read increment a */
/* N/A, lro->4608 */
/* self.localReadDoCntA 0 self.localReadDoCntB 0 */

/* local read increment b */
/* N/A, lro->4608 */
/* self.localReadDoCntA 0 self.localReadDoCntB 0 */
s_waitcnt lgkmcnt(8)                               // lgkmcnt=0 vmcnt=-1wait for prior local read local write old=0, new=8 newLW=0 newLR=0
.align32 8, 0xbf800001                             // align v_pk_fma
MAC_16x16_X0

/* iter 17 */


/* local read a */
_ds_load_b64 v[vgprValuA_X0_I0+0:vgprValuA_X0_I0+0+1], v[vgprLocalReadAddrA] offset:9216 // L -> Reg lro=4608 swapByteOffset=0 ti=16 vIdx=0 rIdx=0 oIdx=0 buffer=0 iui=0
_ds_load_b64 v[vgprValuA_X0_I0+2:vgprValuA_X0_I0+2+1], v[vgprLocalReadAddrA] offset:9344 // L -> Reg lro=4608 swapByteOffset=0 ti=16 vIdx=1 rIdx=0 oIdx=0 buffer=0 iui=0
	;; [unrolled: 1-line block ×4, first 2 shown]

/* local read b */
_ds_load_b64 v[vgprValuB_X0_I0+0:vgprValuB_X0_I0+0+1], v[vgprLocalReadAddrB] offset:9216 // L -> Reg lro=4608 swapByteOffset=0 ti=16 vIdx=0 rIdx=0 oIdx=0 buffer=0 iui=0
_ds_load_b64 v[vgprValuB_X0_I0+2:vgprValuB_X0_I0+2+1], v[vgprLocalReadAddrB] offset:9344 // L -> Reg lro=4608 swapByteOffset=0 ti=16 vIdx=1 rIdx=0 oIdx=0 buffer=0 iui=0
	;; [unrolled: 1-line block ×4, first 2 shown]

/* local read increment a */
/* N/A, lro->4864 */
/* self.localReadDoCntA 0 self.localReadDoCntB 0 */

/* local read increment b */
/* N/A, lro->4864 */
/* self.localReadDoCntA 0 self.localReadDoCntB 0 */
s_waitcnt lgkmcnt(8)                               // lgkmcnt=0 vmcnt=-1wait for prior local read local write old=0, new=8 newLW=0 newLR=0
.align32 8, 0xbf800001                             // align v_pk_fma
MAC_16x16_X1

/* iter 18 */


/* local read a */
_ds_load_b64 v[vgprValuA_X1_I0+0:vgprValuA_X1_I0+0+1], v[vgprLocalReadAddrA] offset:9728 // L -> Reg lro=4864 swapByteOffset=0 ti=16 vIdx=0 rIdx=0 oIdx=0 buffer=1 iui=0
_ds_load_b64 v[vgprValuA_X1_I0+2:vgprValuA_X1_I0+2+1], v[vgprLocalReadAddrA] offset:9856 // L -> Reg lro=4864 swapByteOffset=0 ti=16 vIdx=1 rIdx=0 oIdx=0 buffer=1 iui=0
	;; [unrolled: 1-line block ×4, first 2 shown]

/* local read b */
_ds_load_b64 v[vgprValuB_X1_I0+0:vgprValuB_X1_I0+0+1], v[vgprLocalReadAddrB] offset:9728 // L -> Reg lro=4864 swapByteOffset=0 ti=16 vIdx=0 rIdx=0 oIdx=0 buffer=1 iui=0
_ds_load_b64 v[vgprValuB_X1_I0+2:vgprValuB_X1_I0+2+1], v[vgprLocalReadAddrB] offset:9856 // L -> Reg lro=4864 swapByteOffset=0 ti=16 vIdx=1 rIdx=0 oIdx=0 buffer=1 iui=0
_ds_load_b64 v[vgprValuB_X1_I0+4:vgprValuB_X1_I0+4+1], v[vgprLocalReadAddrB] offset:9984 // L -> Reg lro=4864 swapByteOffset=0 ti=16 vIdx=2 rIdx=0 oIdx=0 buffer=1 iui=0
_ds_load_b64 v[vgprValuB_X1_I0+6:vgprValuB_X1_I0+6+1], v[vgprLocalReadAddrB] offset:10112 // L -> Reg lro=4864 swapByteOffset=0 ti=16 vIdx=3 rIdx=0 oIdx=0 buffer=1 iui=0

/* local read increment a */
/* N/A, lro->5120 */
/* self.localReadDoCntA 0 self.localReadDoCntB 0 */

/* local read increment b */
/* N/A, lro->5120 */
/* self.localReadDoCntA 0 self.localReadDoCntB 0 */
s_waitcnt lgkmcnt(8)                               // lgkmcnt=0 vmcnt=-1wait for prior local read local write old=0, new=8 newLW=0 newLR=0
.align32 8, 0xbf800001                             // align v_pk_fma
MAC_16x16_X0

/* iter 19 */


/* local read a */
_ds_load_b64 v[vgprValuA_X0_I0+0:vgprValuA_X0_I0+0+1], v[vgprLocalReadAddrA] offset:10240 // L -> Reg lro=5120 swapByteOffset=0 ti=16 vIdx=0 rIdx=0 oIdx=0 buffer=0 iui=0
_ds_load_b64 v[vgprValuA_X0_I0+2:vgprValuA_X0_I0+2+1], v[vgprLocalReadAddrA] offset:10368 // L -> Reg lro=5120 swapByteOffset=0 ti=16 vIdx=1 rIdx=0 oIdx=0 buffer=0 iui=0
	;; [unrolled: 1-line block ×4, first 2 shown]

/* local read b */
_ds_load_b64 v[vgprValuB_X0_I0+0:vgprValuB_X0_I0+0+1], v[vgprLocalReadAddrB] offset:10240 // L -> Reg lro=5120 swapByteOffset=0 ti=16 vIdx=0 rIdx=0 oIdx=0 buffer=0 iui=0
_ds_load_b64 v[vgprValuB_X0_I0+2:vgprValuB_X0_I0+2+1], v[vgprLocalReadAddrB] offset:10368 // L -> Reg lro=5120 swapByteOffset=0 ti=16 vIdx=1 rIdx=0 oIdx=0 buffer=0 iui=0
	;; [unrolled: 1-line block ×4, first 2 shown]

/* local read increment a */
/* N/A, lro->5376 */
/* self.localReadDoCntA 0 self.localReadDoCntB 0 */

/* local read increment b */
/* N/A, lro->5376 */
/* self.localReadDoCntA 0 self.localReadDoCntB 0 */
s_waitcnt lgkmcnt(8)                               // lgkmcnt=0 vmcnt=-1wait for prior local read local write old=0, new=8 newLW=0 newLR=0
.align32 8, 0xbf800001                             // align v_pk_fma
MAC_16x16_X1

/* iter 20 */


/* local read a */
_ds_load_b64 v[vgprValuA_X1_I0+0:vgprValuA_X1_I0+0+1], v[vgprLocalReadAddrA] offset:10752 // L -> Reg lro=5376 swapByteOffset=0 ti=16 vIdx=0 rIdx=0 oIdx=0 buffer=1 iui=0
_ds_load_b64 v[vgprValuA_X1_I0+2:vgprValuA_X1_I0+2+1], v[vgprLocalReadAddrA] offset:10880 // L -> Reg lro=5376 swapByteOffset=0 ti=16 vIdx=1 rIdx=0 oIdx=0 buffer=1 iui=0
	;; [unrolled: 1-line block ×4, first 2 shown]

/* local read b */
_ds_load_b64 v[vgprValuB_X1_I0+0:vgprValuB_X1_I0+0+1], v[vgprLocalReadAddrB] offset:10752 // L -> Reg lro=5376 swapByteOffset=0 ti=16 vIdx=0 rIdx=0 oIdx=0 buffer=1 iui=0
_ds_load_b64 v[vgprValuB_X1_I0+2:vgprValuB_X1_I0+2+1], v[vgprLocalReadAddrB] offset:10880 // L -> Reg lro=5376 swapByteOffset=0 ti=16 vIdx=1 rIdx=0 oIdx=0 buffer=1 iui=0
	;; [unrolled: 1-line block ×4, first 2 shown]

/* local read increment a */
/* N/A, lro->5632 */
/* self.localReadDoCntA 0 self.localReadDoCntB 0 */

/* local read increment b */
/* N/A, lro->5632 */
/* self.localReadDoCntA 0 self.localReadDoCntB 0 */
s_waitcnt lgkmcnt(8)                               // lgkmcnt=0 vmcnt=-1wait for prior local read local write old=0, new=8 newLW=0 newLR=0
.align32 8, 0xbf800001                             // align v_pk_fma
MAC_16x16_X0

/* iter 21 */


/* local read a */
_ds_load_b64 v[vgprValuA_X0_I0+0:vgprValuA_X0_I0+0+1], v[vgprLocalReadAddrA] offset:11264 // L -> Reg lro=5632 swapByteOffset=0 ti=16 vIdx=0 rIdx=0 oIdx=0 buffer=0 iui=0
_ds_load_b64 v[vgprValuA_X0_I0+2:vgprValuA_X0_I0+2+1], v[vgprLocalReadAddrA] offset:11392 // L -> Reg lro=5632 swapByteOffset=0 ti=16 vIdx=1 rIdx=0 oIdx=0 buffer=0 iui=0
	;; [unrolled: 1-line block ×4, first 2 shown]

/* local read b */
_ds_load_b64 v[vgprValuB_X0_I0+0:vgprValuB_X0_I0+0+1], v[vgprLocalReadAddrB] offset:11264 // L -> Reg lro=5632 swapByteOffset=0 ti=16 vIdx=0 rIdx=0 oIdx=0 buffer=0 iui=0
_ds_load_b64 v[vgprValuB_X0_I0+2:vgprValuB_X0_I0+2+1], v[vgprLocalReadAddrB] offset:11392 // L -> Reg lro=5632 swapByteOffset=0 ti=16 vIdx=1 rIdx=0 oIdx=0 buffer=0 iui=0
	;; [unrolled: 1-line block ×4, first 2 shown]

/* local read increment a */
/* N/A, lro->5888 */
/* self.localReadDoCntA 0 self.localReadDoCntB 0 */

/* local read increment b */
/* N/A, lro->5888 */
/* self.localReadDoCntA 0 self.localReadDoCntB 0 */
s_waitcnt lgkmcnt(8)                               // lgkmcnt=0 vmcnt=-1wait for prior local read local write old=0, new=8 newLW=0 newLR=0
.align32 8, 0xbf800001                             // align v_pk_fma
MAC_16x16_X1

/* iter 22 */


/* local read a */
_ds_load_b64 v[vgprValuA_X1_I0+0:vgprValuA_X1_I0+0+1], v[vgprLocalReadAddrA] offset:11776 // L -> Reg lro=5888 swapByteOffset=0 ti=16 vIdx=0 rIdx=0 oIdx=0 buffer=1 iui=0
_ds_load_b64 v[vgprValuA_X1_I0+2:vgprValuA_X1_I0+2+1], v[vgprLocalReadAddrA] offset:11904 // L -> Reg lro=5888 swapByteOffset=0 ti=16 vIdx=1 rIdx=0 oIdx=0 buffer=1 iui=0
	;; [unrolled: 1-line block ×4, first 2 shown]

/* local read b */
_ds_load_b64 v[vgprValuB_X1_I0+0:vgprValuB_X1_I0+0+1], v[vgprLocalReadAddrB] offset:11776 // L -> Reg lro=5888 swapByteOffset=0 ti=16 vIdx=0 rIdx=0 oIdx=0 buffer=1 iui=0
_ds_load_b64 v[vgprValuB_X1_I0+2:vgprValuB_X1_I0+2+1], v[vgprLocalReadAddrB] offset:11904 // L -> Reg lro=5888 swapByteOffset=0 ti=16 vIdx=1 rIdx=0 oIdx=0 buffer=1 iui=0
	;; [unrolled: 1-line block ×4, first 2 shown]

/* local read increment a */
/* N/A, lro->6144 */
/* self.localReadDoCntA 0 self.localReadDoCntB 0 */

/* local read increment b */
/* N/A, lro->6144 */
/* self.localReadDoCntA 0 self.localReadDoCntB 0 */
s_waitcnt lgkmcnt(8)                               // lgkmcnt=0 vmcnt=-1wait for prior local read local write old=0, new=8 newLW=0 newLR=0
.align32 8, 0xbf800001                             // align v_pk_fma
MAC_16x16_X0

/* iter 23 */


/* local read a */
_ds_load_b64 v[vgprValuA_X0_I0+0:vgprValuA_X0_I0+0+1], v[vgprLocalReadAddrA] offset:12288 // L -> Reg lro=6144 swapByteOffset=0 ti=16 vIdx=0 rIdx=0 oIdx=0 buffer=0 iui=0
_ds_load_b64 v[vgprValuA_X0_I0+2:vgprValuA_X0_I0+2+1], v[vgprLocalReadAddrA] offset:12416 // L -> Reg lro=6144 swapByteOffset=0 ti=16 vIdx=1 rIdx=0 oIdx=0 buffer=0 iui=0
	;; [unrolled: 1-line block ×4, first 2 shown]

/* local read b */
_ds_load_b64 v[vgprValuB_X0_I0+0:vgprValuB_X0_I0+0+1], v[vgprLocalReadAddrB] offset:12288 // L -> Reg lro=6144 swapByteOffset=0 ti=16 vIdx=0 rIdx=0 oIdx=0 buffer=0 iui=0
_ds_load_b64 v[vgprValuB_X0_I0+2:vgprValuB_X0_I0+2+1], v[vgprLocalReadAddrB] offset:12416 // L -> Reg lro=6144 swapByteOffset=0 ti=16 vIdx=1 rIdx=0 oIdx=0 buffer=0 iui=0
	;; [unrolled: 1-line block ×4, first 2 shown]

/* local read increment a */
/* N/A, lro->6400 */
/* self.localReadDoCntA 0 self.localReadDoCntB 0 */

/* local read increment b */
/* N/A, lro->6400 */
/* self.localReadDoCntA 0 self.localReadDoCntB 0 */
s_waitcnt lgkmcnt(8)                               // lgkmcnt=0 vmcnt=-1wait for prior local read local write old=0, new=8 newLW=0 newLR=0
.align32 8, 0xbf800001                             // align v_pk_fma
MAC_16x16_X1

/* iter 24 */


/* local read a */
_ds_load_b64 v[vgprValuA_X1_I0+0:vgprValuA_X1_I0+0+1], v[vgprLocalReadAddrA] offset:12800 // L -> Reg lro=6400 swapByteOffset=0 ti=16 vIdx=0 rIdx=0 oIdx=0 buffer=1 iui=0
_ds_load_b64 v[vgprValuA_X1_I0+2:vgprValuA_X1_I0+2+1], v[vgprLocalReadAddrA] offset:12928 // L -> Reg lro=6400 swapByteOffset=0 ti=16 vIdx=1 rIdx=0 oIdx=0 buffer=1 iui=0
	;; [unrolled: 1-line block ×4, first 2 shown]

/* local read b */
_ds_load_b64 v[vgprValuB_X1_I0+0:vgprValuB_X1_I0+0+1], v[vgprLocalReadAddrB] offset:12800 // L -> Reg lro=6400 swapByteOffset=0 ti=16 vIdx=0 rIdx=0 oIdx=0 buffer=1 iui=0
_ds_load_b64 v[vgprValuB_X1_I0+2:vgprValuB_X1_I0+2+1], v[vgprLocalReadAddrB] offset:12928 // L -> Reg lro=6400 swapByteOffset=0 ti=16 vIdx=1 rIdx=0 oIdx=0 buffer=1 iui=0
	;; [unrolled: 1-line block ×4, first 2 shown]

/* local read increment a */
/* N/A, lro->6656 */
/* self.localReadDoCntA 0 self.localReadDoCntB 0 */

/* local read increment b */
/* N/A, lro->6656 */
/* self.localReadDoCntA 0 self.localReadDoCntB 0 */
s_waitcnt lgkmcnt(8)                               // lgkmcnt=0 vmcnt=-1wait for prior local read local write old=0, new=8 newLW=0 newLR=0
.align32 8, 0xbf800001                             // align v_pk_fma
MAC_16x16_X0

/* iter 25 */


/* local read a */
_ds_load_b64 v[vgprValuA_X0_I0+0:vgprValuA_X0_I0+0+1], v[vgprLocalReadAddrA] offset:13312 // L -> Reg lro=6656 swapByteOffset=0 ti=16 vIdx=0 rIdx=0 oIdx=0 buffer=0 iui=0
_ds_load_b64 v[vgprValuA_X0_I0+2:vgprValuA_X0_I0+2+1], v[vgprLocalReadAddrA] offset:13440 // L -> Reg lro=6656 swapByteOffset=0 ti=16 vIdx=1 rIdx=0 oIdx=0 buffer=0 iui=0
_ds_load_b64 v[vgprValuA_X0_I0+4:vgprValuA_X0_I0+4+1], v[vgprLocalReadAddrA] offset:13568 // L -> Reg lro=6656 swapByteOffset=0 ti=16 vIdx=2 rIdx=0 oIdx=0 buffer=0 iui=0
_ds_load_b64 v[vgprValuA_X0_I0+6:vgprValuA_X0_I0+6+1], v[vgprLocalReadAddrA] offset:13696 // L -> Reg lro=6656 swapByteOffset=0 ti=16 vIdx=3 rIdx=0 oIdx=0 buffer=0 iui=0

/* local read b */
_ds_load_b64 v[vgprValuB_X0_I0+0:vgprValuB_X0_I0+0+1], v[vgprLocalReadAddrB] offset:13312 // L -> Reg lro=6656 swapByteOffset=0 ti=16 vIdx=0 rIdx=0 oIdx=0 buffer=0 iui=0
_ds_load_b64 v[vgprValuB_X0_I0+2:vgprValuB_X0_I0+2+1], v[vgprLocalReadAddrB] offset:13440 // L -> Reg lro=6656 swapByteOffset=0 ti=16 vIdx=1 rIdx=0 oIdx=0 buffer=0 iui=0
	;; [unrolled: 1-line block ×4, first 2 shown]

/* local read increment a */
/* N/A, lro->6912 */
/* self.localReadDoCntA 0 self.localReadDoCntB 0 */

/* local read increment b */
/* N/A, lro->6912 */
/* self.localReadDoCntA 0 self.localReadDoCntB 0 */
s_waitcnt lgkmcnt(8)                               // lgkmcnt=0 vmcnt=-1wait for prior local read local write old=0, new=8 newLW=0 newLR=0
.align32 8, 0xbf800001                             // align v_pk_fma
MAC_16x16_X1

/* iter 26 */


/* local read a */
_ds_load_b64 v[vgprValuA_X1_I0+0:vgprValuA_X1_I0+0+1], v[vgprLocalReadAddrA] offset:13824 // L -> Reg lro=6912 swapByteOffset=0 ti=16 vIdx=0 rIdx=0 oIdx=0 buffer=1 iui=0
_ds_load_b64 v[vgprValuA_X1_I0+2:vgprValuA_X1_I0+2+1], v[vgprLocalReadAddrA] offset:13952 // L -> Reg lro=6912 swapByteOffset=0 ti=16 vIdx=1 rIdx=0 oIdx=0 buffer=1 iui=0
	;; [unrolled: 1-line block ×4, first 2 shown]

/* local read b */
_ds_load_b64 v[vgprValuB_X1_I0+0:vgprValuB_X1_I0+0+1], v[vgprLocalReadAddrB] offset:13824 // L -> Reg lro=6912 swapByteOffset=0 ti=16 vIdx=0 rIdx=0 oIdx=0 buffer=1 iui=0
_ds_load_b64 v[vgprValuB_X1_I0+2:vgprValuB_X1_I0+2+1], v[vgprLocalReadAddrB] offset:13952 // L -> Reg lro=6912 swapByteOffset=0 ti=16 vIdx=1 rIdx=0 oIdx=0 buffer=1 iui=0
	;; [unrolled: 1-line block ×4, first 2 shown]

/* local read increment a */
/* N/A, lro->7168 */
/* self.localReadDoCntA 0 self.localReadDoCntB 0 */

/* local read increment b */
/* N/A, lro->7168 */
/* self.localReadDoCntA 0 self.localReadDoCntB 0 */
s_waitcnt lgkmcnt(8)                               // lgkmcnt=0 vmcnt=-1wait for prior local read local write old=0, new=8 newLW=0 newLR=0
.align32 8, 0xbf800001                             // align v_pk_fma
MAC_16x16_X0

/* iter 27 */


/* local read a */
_ds_load_b64 v[vgprValuA_X0_I0+0:vgprValuA_X0_I0+0+1], v[vgprLocalReadAddrA] offset:14336 // L -> Reg lro=7168 swapByteOffset=0 ti=16 vIdx=0 rIdx=0 oIdx=0 buffer=0 iui=0
_ds_load_b64 v[vgprValuA_X0_I0+2:vgprValuA_X0_I0+2+1], v[vgprLocalReadAddrA] offset:14464 // L -> Reg lro=7168 swapByteOffset=0 ti=16 vIdx=1 rIdx=0 oIdx=0 buffer=0 iui=0
	;; [unrolled: 1-line block ×4, first 2 shown]

/* local read b */
_ds_load_b64 v[vgprValuB_X0_I0+0:vgprValuB_X0_I0+0+1], v[vgprLocalReadAddrB] offset:14336 // L -> Reg lro=7168 swapByteOffset=0 ti=16 vIdx=0 rIdx=0 oIdx=0 buffer=0 iui=0
_ds_load_b64 v[vgprValuB_X0_I0+2:vgprValuB_X0_I0+2+1], v[vgprLocalReadAddrB] offset:14464 // L -> Reg lro=7168 swapByteOffset=0 ti=16 vIdx=1 rIdx=0 oIdx=0 buffer=0 iui=0
	;; [unrolled: 1-line block ×4, first 2 shown]

/* local read increment a */
/* N/A, lro->7424 */
/* self.localReadDoCntA 0 self.localReadDoCntB 0 */

/* local read increment b */
/* N/A, lro->7424 */
/* self.localReadDoCntA 0 self.localReadDoCntB 0 */
s_waitcnt lgkmcnt(8)                               // lgkmcnt=0 vmcnt=-1wait for prior local read local write old=0, new=8 newLW=0 newLR=0
.align32 8, 0xbf800001                             // align v_pk_fma
MAC_16x16_X1

/* iter 28 */


/* local read a */
_ds_load_b64 v[vgprValuA_X1_I0+0:vgprValuA_X1_I0+0+1], v[vgprLocalReadAddrA] offset:14848 // L -> Reg lro=7424 swapByteOffset=0 ti=16 vIdx=0 rIdx=0 oIdx=0 buffer=1 iui=0
_ds_load_b64 v[vgprValuA_X1_I0+2:vgprValuA_X1_I0+2+1], v[vgprLocalReadAddrA] offset:14976 // L -> Reg lro=7424 swapByteOffset=0 ti=16 vIdx=1 rIdx=0 oIdx=0 buffer=1 iui=0
	;; [unrolled: 1-line block ×4, first 2 shown]

/* local read b */
_ds_load_b64 v[vgprValuB_X1_I0+0:vgprValuB_X1_I0+0+1], v[vgprLocalReadAddrB] offset:14848 // L -> Reg lro=7424 swapByteOffset=0 ti=16 vIdx=0 rIdx=0 oIdx=0 buffer=1 iui=0
_ds_load_b64 v[vgprValuB_X1_I0+2:vgprValuB_X1_I0+2+1], v[vgprLocalReadAddrB] offset:14976 // L -> Reg lro=7424 swapByteOffset=0 ti=16 vIdx=1 rIdx=0 oIdx=0 buffer=1 iui=0
	;; [unrolled: 1-line block ×4, first 2 shown]

/* local read increment a */
/* N/A, lro->7680 */
/* self.localReadDoCntA 0 self.localReadDoCntB 0 */

/* local read increment b */
/* N/A, lro->7680 */
/* self.localReadDoCntA 0 self.localReadDoCntB 0 */
s_waitcnt lgkmcnt(8)                               // lgkmcnt=0 vmcnt=-1wait for prior local read local write old=0, new=8 newLW=0 newLR=0
.align32 8, 0xbf800001                             // align v_pk_fma
MAC_16x16_X0

/* iter 29 */


/* local read a */
_ds_load_b64 v[vgprValuA_X0_I0+0:vgprValuA_X0_I0+0+1], v[vgprLocalReadAddrA] offset:15360 // L -> Reg lro=7680 swapByteOffset=0 ti=16 vIdx=0 rIdx=0 oIdx=0 buffer=0 iui=0
_ds_load_b64 v[vgprValuA_X0_I0+2:vgprValuA_X0_I0+2+1], v[vgprLocalReadAddrA] offset:15488 // L -> Reg lro=7680 swapByteOffset=0 ti=16 vIdx=1 rIdx=0 oIdx=0 buffer=0 iui=0
_ds_load_b64 v[vgprValuA_X0_I0+4:vgprValuA_X0_I0+4+1], v[vgprLocalReadAddrA] offset:15616 // L -> Reg lro=7680 swapByteOffset=0 ti=16 vIdx=2 rIdx=0 oIdx=0 buffer=0 iui=0
_ds_load_b64 v[vgprValuA_X0_I0+6:vgprValuA_X0_I0+6+1], v[vgprLocalReadAddrA] offset:15744 // L -> Reg lro=7680 swapByteOffset=0 ti=16 vIdx=3 rIdx=0 oIdx=0 buffer=0 iui=0

/* local read b */
_ds_load_b64 v[vgprValuB_X0_I0+0:vgprValuB_X0_I0+0+1], v[vgprLocalReadAddrB] offset:15360 // L -> Reg lro=7680 swapByteOffset=0 ti=16 vIdx=0 rIdx=0 oIdx=0 buffer=0 iui=0
_ds_load_b64 v[vgprValuB_X0_I0+2:vgprValuB_X0_I0+2+1], v[vgprLocalReadAddrB] offset:15488 // L -> Reg lro=7680 swapByteOffset=0 ti=16 vIdx=1 rIdx=0 oIdx=0 buffer=0 iui=0
	;; [unrolled: 1-line block ×4, first 2 shown]

/* local read increment a */
/* N/A, lro->7936 */
/* self.localReadDoCntA 0 self.localReadDoCntB 0 */

/* local read increment b */
/* N/A, lro->7936 */
/* self.localReadDoCntA 0 self.localReadDoCntB 0 */
s_waitcnt lgkmcnt(8)                               // lgkmcnt=0 vmcnt=-1wait for prior local read local write old=0, new=8 newLW=0 newLR=0
.align32 8, 0xbf800001                             // align v_pk_fma
MAC_16x16_X1

/* iter 30 (reset local read pointers iteration)  (swap and reset local write pointers iteration)  (swap local read pointers iteration)  */


/* local read a */
_ds_load_b64 v[vgprValuA_X1_I0+0:vgprValuA_X1_I0+0+1], v[vgprLocalReadAddrA] offset:15872 // L -> Reg lro=7936 swapByteOffset=0 ti=16 vIdx=0 rIdx=0 oIdx=0 buffer=1 iui=0
_ds_load_b64 v[vgprValuA_X1_I0+2:vgprValuA_X1_I0+2+1], v[vgprLocalReadAddrA] offset:16000 // L -> Reg lro=7936 swapByteOffset=0 ti=16 vIdx=1 rIdx=0 oIdx=0 buffer=1 iui=0
_ds_load_b64 v[vgprValuA_X1_I0+4:vgprValuA_X1_I0+4+1], v[vgprLocalReadAddrA] offset:16128 // L -> Reg lro=7936 swapByteOffset=0 ti=16 vIdx=2 rIdx=0 oIdx=0 buffer=1 iui=0
_ds_load_b64 v[vgprValuA_X1_I0+6:vgprValuA_X1_I0+6+1], v[vgprLocalReadAddrA] offset:16256 // L -> Reg lro=7936 swapByteOffset=0 ti=16 vIdx=3 rIdx=0 oIdx=0 buffer=1 iui=0

/* local read b */
_ds_load_b64 v[vgprValuB_X1_I0+0:vgprValuB_X1_I0+0+1], v[vgprLocalReadAddrB] offset:15872 // L -> Reg lro=7936 swapByteOffset=0 ti=16 vIdx=0 rIdx=0 oIdx=0 buffer=1 iui=0
_ds_load_b64 v[vgprValuB_X1_I0+2:vgprValuB_X1_I0+2+1], v[vgprLocalReadAddrB] offset:16000 // L -> Reg lro=7936 swapByteOffset=0 ti=16 vIdx=1 rIdx=0 oIdx=0 buffer=1 iui=0
	;; [unrolled: 1-line block ×4, first 2 shown]

/* local read init pointers a */

/* localReadInitPointers */

/* local read init pointers b */

/* localReadInitPointers */
s_waitcnt lgkmcnt(8)                               // lgkmcnt=0 vmcnt=-1wait for prior local read local write old=0, new=8 newLW=0 newLR=0
.align32 8, 0xbf800001                             // align v_pk_fma
MAC_16x16_X0

/* iter 31 */

s_waitcnt lgkmcnt(0)                               // lgkmcnt=0 vmcnt=-1wait for prior local read local write old=0, new=0 newLW=0 newLR=0
.align32 8, 0xbf800001                             // align v_pk_fma
MAC_16x16_X1

/******************************************/
/* Unrolled Loop - End                    */
/******************************************/


/* closeLoop loopL finalLoop=1 tailLoop=0 */
s_sub_u32 s[sgprLoopCounterL], s[sgprLoopCounterL], 1 // dec counterL
s_cmp_eq_i32 s[sgprLoopCounterL], 0x0              // counterL==0
s_cbranch_scc0 LoopBeginL_1                        // restart LoopL
LoopEndL_2:


/* Before NLL: Check VGPR.checkin for INT8 LW */


/******************************************/
/* Tail Loop                              */
/******************************************/


//numIterL = (((sizeL % LOCAL_DEPTHU) + LOCAL_SPLITU - 1) / LOCAL_SPLITU)
s_and_b32 s[sgprLoopCounterL], 31, s[sgprSizesSum+0] // s[sgprLoopCounterL] = s[sgprSizesSum+0] % 32
s_cmp_lg_u32 s[sgprGSUSumIdx], s[sgprGSUSumIdx+1]  // gsuSumIdx == numIterPerWgRemainder
s_cmov_b32 s[sgprLoopCounterL], 0x0                // numIter=0 if gsuSumIdx!=remainder
s_cmp_eq_u32 s[sgprLoopCounterL], 0x0              // numIterL == 0
s_cbranch_scc1 SkipTailLoopL_8                     // skip to end of tail loop b/c numIter==0
s_mov_b32 s[sgprOrigLoopCounter], 0                // repurpose to count each localRead increment


/* remove stagger offsets for tail loop */

s_mov_b32 s66, 2                                   // 
s_mul_hi_u32 s65, s66, s[sgprGlobalReadIncsA+0]    // 2 * GlobalReadIncs
s_mul_i32 s64, s66, s[sgprGlobalReadIncsA+0]       // 2 * GlobalReadIncs
s_mul_hi_u32 s67, s[sgprStaggerUIter], s[sgprGlobalReadIncsA+0] // StaggerUIter * GlobalReadIncs
s_mul_i32 s66, s[sgprStaggerUIter], s[sgprGlobalReadIncsA+0] // StaggerUIter * GlobalReadIncs
s_sub_u32 s64, s64, s66                            // start offset S in bytes
s_subb_u32 s65, s65, s67                           // start offset S in bytes
s_sub_u32 s64, s64, s[sgprWrapUA]                  // S - WrapU
s_subb_u32 s65, s65, s[sgprWrapUA+1]               // S - WrapU
s_add_u32 s[sgprSrdA+0], s[sgprSrdA+0], s64        // gra SRD += inc(lower)
s_addc_u32  s[sgprSrdA+1], s[sgprSrdA+1], s65      // gra SRD += inc(upper)
s_sub_u32 s[sgprShadowLimitA+0], s[sgprShadowLimitA+0], s64 // limit -= inc)
s_subb_u32 s[sgprShadowLimitA+1], s[sgprShadowLimitA+1], s65 // limit -= inc)
s_cmp_eq_u32 s[sgprShadowLimitA+1], 0              // are we within 2^32?
s_cselect_b32 s[sgprSrdA+2], s[sgprShadowLimitA+0], BufferLimitA // Move shadow to real if we are within 2^32

s_mov_b32 s66, 2                                   // 
s_mul_hi_u32 s65, s66, s[sgprGlobalReadIncsB+0]    // 2 * GlobalReadIncs
s_mul_i32 s64, s66, s[sgprGlobalReadIncsB+0]       // 2 * GlobalReadIncs
s_mul_hi_u32 s67, s[sgprStaggerUIter], s[sgprGlobalReadIncsB+0] // StaggerUIter * GlobalReadIncs
s_mul_i32 s66, s[sgprStaggerUIter], s[sgprGlobalReadIncsB+0] // StaggerUIter * GlobalReadIncs
s_sub_u32 s64, s64, s66                            // start offset S in bytes
s_subb_u32 s65, s65, s67                           // start offset S in bytes
s_sub_u32 s64, s64, s[sgprWrapUB]                  // S - WrapU
s_subb_u32 s65, s65, s[sgprWrapUB+1]               // S - WrapU
s_add_u32 s[sgprSrdB+0], s[sgprSrdB+0], s64        // gra SRD += inc(lower)
s_addc_u32  s[sgprSrdB+1], s[sgprSrdB+1], s65      // gra SRD += inc(upper)
s_sub_u32 s[sgprShadowLimitB+0], s[sgprShadowLimitB+0], s64 // limit -= inc)
s_subb_u32 s[sgprShadowLimitB+1], s[sgprShadowLimitB+1], s65 // limit -= inc)
s_cmp_eq_u32 s[sgprShadowLimitB+1], 0              // are we within 2^32?
s_cselect_b32 s[sgprSrdB+2], s[sgprShadowLimitB+0], BufferLimitB // Move shadow to real if we are within 2^32


/* Update M0 for DTLDS */


	;; [unrolled: 1-line block ×3, first 2 shown]
/* global read a */

/* g2l=0, load component 0 */
_buffer_load_b32 v[vgprG2LA+0+0], v[vgprGlobalReadOffsetA+0], s[sgprSrdA:sgprSrdA+3], 0, offen offset:0 // load packed 2X buffer value
/* g2l=0, load component 2 */
_buffer_load_b32 v[vgprG2LA+0+1], v[vgprGlobalReadOffsetA+0], s[sgprSrdA:sgprSrdA+3], 0, offen offset:4 // load packed 2X buffer value
	;; [unrolled: 2-line block ×16, first 2 shown]


/* Update M0 for DTLDS */


	;; [unrolled: 1-line block ×3, first 2 shown]
/* global read b */

/* g2l=0, load component 0 */
_buffer_load_d16_b16 v[vgprG2LB+0+0], v[vgprGlobalReadOffsetB+0], s[sgprSrdB:sgprSrdB+3], 0, offen offset:0 // load one buffer value
/* g2l=0, load component 1 */
_buffer_load_d16_hi_b16 v173, v[vgprGlobalReadOffsetB+0], s[sgprSrdB:sgprSrdB+3], 0, offen offset:2 // load one buffer value
s_waitcnt vmcnt(0)
v_or_b32 v[vgprG2LB+0+0], v[vgprG2LB+0+0], v173 // HasEccHalf: pack
/* g2l=0, load component 2 */
_buffer_load_d16_b16 v[vgprG2LB+0+1], v[vgprGlobalReadOffsetB+0], s[sgprSrdB:sgprSrdB+3], 0, offen offset:4 // load one buffer value
/* g2l=0, load component 3 */
_buffer_load_d16_hi_b16 v173, v[vgprGlobalReadOffsetB+0], s[sgprSrdB:sgprSrdB+3], 0, offen offset:6 // load one buffer value
s_waitcnt vmcnt(0)
v_or_b32 v[vgprG2LB+0+1], v[vgprG2LB+0+1], v173 // HasEccHalf: pack
	;; [unrolled: 6-line block ×16, first 2 shown]

s_waitcnt vmcnt(0)                                 // lgkmcnt=-1 vmcnt=02wait for global read

s_barrier //


/* Done global A/B reads */


	;; [unrolled: 1-line block ×4, first 2 shown]
/* local write a */

_ds_store_b128 v[vgprLocalWriteAddrA], v[vgprG2LA+0:vgprG2LA+0+3] offset:0 // lwoA_0_0_0_0 = (0*LSCA) + (0*LSPA)(*MT0I+PAD) = 0
_ds_store_b128 v[vgprLocalWriteAddrA], v[vgprG2LA+4:vgprG2LA+4+3] offset:4096 // lwoA_0_0_1_0 = (0*LSCA) + (1*LSPA)(*MT0I+PAD) = 4096
_ds_store_b128 v[vgprLocalWriteAddrA], v[vgprG2LA+8:vgprG2LA+8+3] offset:8192 // lwoA_0_0_2_0 = (0*LSCA) + (2*LSPA)(*MT0I+PAD) = 8192
_ds_store_b128 v[vgprLocalWriteAddrA], v[vgprG2LA+12:vgprG2LA+12+3] offset:12288 // lwoA_0_0_3_0 = (0*LSCA) + (3*LSPA)(*MT0I+PAD) = 12288


/* local write b */

_ds_store_b128 v[vgprLocalWriteAddrB], v[vgprG2LB+0:vgprG2LB+0+3] offset:0 // lwoB_0_0_0_0 = (0*LSCB) + (0*LSPB)(*MT1J+PAD) = 0
_ds_store_b128 v[vgprLocalWriteAddrB], v[vgprG2LB+4:vgprG2LB+4+3] offset:4096 // lwoB_0_0_1_0 = (0*LSCB) + (1*LSPB)(*MT1J+PAD) = 4096
_ds_store_b128 v[vgprLocalWriteAddrB], v[vgprG2LB+8:vgprG2LB+8+3] offset:8192 // lwoB_0_0_2_0 = (0*LSCB) + (2*LSPB)(*MT1J+PAD) = 8192
_ds_store_b128 v[vgprLocalWriteAddrB], v[vgprG2LB+12:vgprG2LB+12+3] offset:12288 // lwoB_0_0_3_0 = (0*LSCB) + (3*LSPB)(*MT1J+PAD) = 12288


/* Recalc local read offsets */


s_waitcnt lgkmcnt(0)                               // lgkmcnt=0 vmcnt=-15wait for local write

s_barrier //


/* tail loop: macs */

TailLoopBeginL_6:


/* local read a */

_ds_load_b64 v[vgprValuA_X0_I0+0:vgprValuA_X0_I0+0+1], v[vgprLocalReadAddrA] offset:0 // L -> Reg lro=0 swapByteOffset=0 ti=16 vIdx=0 rIdx=0 oIdx=0 buffer=0 iui=0
_ds_load_b64 v[vgprValuA_X0_I0+2:vgprValuA_X0_I0+2+1], v[vgprLocalReadAddrA] offset:128 // L -> Reg lro=0 swapByteOffset=0 ti=16 vIdx=1 rIdx=0 oIdx=0 buffer=0 iui=0
	;; [unrolled: 1-line block ×4, first 2 shown]


/* local read b */

_ds_load_b64 v[vgprValuB_X0_I0+0:vgprValuB_X0_I0+0+1], v[vgprLocalReadAddrB] offset:0 // L -> Reg lro=0 swapByteOffset=0 ti=16 vIdx=0 rIdx=0 oIdx=0 buffer=0 iui=0
_ds_load_b64 v[vgprValuB_X0_I0+2:vgprValuB_X0_I0+2+1], v[vgprLocalReadAddrB] offset:128 // L -> Reg lro=0 swapByteOffset=0 ti=16 vIdx=1 rIdx=0 oIdx=0 buffer=0 iui=0
	;; [unrolled: 1-line block ×4, first 2 shown]


/* local read inc a */

s_mov_b32 s10, 0x200                               // inc
_v_add_co_u32 v[vgprLocalReadAddrA], vcc, s10, v[vgprLocalReadAddrA] // lrA += 512 (LSU*(MT+PAD)*bpe)


/* local read inc b */

s_mov_b32 s10, 0x200                               // inc
_v_add_co_u32 v[vgprLocalReadAddrB], vcc, s10, v[vgprLocalReadAddrB] // lrB += 512 (LSU*(MT+PAD)*bpe)

s_waitcnt lgkmcnt(0)                               // lgkmcnt=0 vmcnt=-14wait for local read

.align32 8, 0xbf800001                             // align v_pk_fma
MAC_16x16_X0

/* closeLoop loopL finalLoop=1 tailLoop=1 */
s_sub_i32 s[sgprLoopCounterL], s[sgprLoopCounterL], 0x1 // dec counterL (tailLoop)
s_add_u32 s[sgprOrigLoopCounter], s[sgprOrigLoopCounter], 0x1 // inc counterL
s_cmp_le_i32 s[sgprLoopCounterL], 0x0              // counterL<=0
s_cbranch_scc0 TailLoopBeginL_6                    // restart LoopL
TailLoopEndL_7:

SkipTailLoopL_8:

Summation_End_14:
/* endSummation: add vgpr [128...170) to pool */
.set NumFullBlocks, UNDEF
.set WgmRemainder1, UNDEF
.set MagicNumberWgmRemainder1, UNDEF
.set WrapUB, UNDEF
.set GlobalReadIncsA, UNDEF
.set GlobalReadIncsB, UNDEF

s_mov_b32 s[sgprSrdD+0], s[sgprAddressD+0]         // init SRD base address (lower)
s_mov_b32 s[sgprSrdD+1], s[sgprAddressD+1]         // init SRD base address (upper) + other fields
s_mov_b32 s[sgprSrdD+2], BufferOOB                 // 
s_mov_b32 s[sgprSrdD+3], Srd127_96                 // Set bits 127_96 in post-loop SRD

s_mov_b32 s[sgprSrdC+0], s[sgprAddressC+0]         // init SRD base address (lower)
s_mov_b32 s[sgprSrdC+1], s[sgprAddressC+1]         // init SRD base address (upper) + other fields
s_mov_b32 s[sgprSrdC+2], BufferOOB                 // 
s_mov_b32 s[sgprSrdC+3], Srd127_96                 // Set bits 127_96 in post-loop SRD


s_mul_i32 s60, MT1, s[sgprWorkGroup1]              // <- wg1*MT1
s_mul_hi_u32 s59, s60, s[sgprStrideC1J]            // CScale s60 by Stride
s_mul_i32 s58, s60, s[sgprStrideC1J]               // CScale s60 by Stride
s_lshl_b64 s[58:59], s[58:59], 1                   // scale by bpe
s_add_u32 s[sgprSrdC+0], s[sgprAddressC+0], s58    // add lo to SRD
s_addc_u32 s[sgprSrdC+1], s[sgprAddressC+1], s59   // add hi to SRD
s_mul_hi_u32 s59, s60, s[sgprStrideD1J]            // Scale s60 by Stride
s_mul_i32 s58, s60, s[sgprStrideD1J]               // Scale s60 by Stride
s_lshl_b64 s[58:59], s[58:59], 1                   // scale by bpe
s_add_u32 s[sgprSrdD+0], s[sgprAddressD+0], s58    // add lo to SRD
s_addc_u32 s[sgprSrdD+1], s[sgprAddressD+1], s59   // add hi to SRD

s_mul_hi_u32 s59, s[sgprWorkGroup2], s[sgprStrideCK] // CScale s[sgprWorkGroup2] by Stride
s_mul_i32 s58, s[sgprWorkGroup2], s[sgprStrideCK]  // CScale s[sgprWorkGroup2] by Stride
s_lshl_b64 s[58:59], s[58:59], 1                   // scale by bpe
s_add_u32 s[sgprSrdC+0], s[sgprSrdC+0], s58        // add lo to SRD
s_addc_u32 s[sgprSrdC+1], s[sgprSrdC+1], s59       // add hi to SRD
s_mul_hi_u32 s59, s[sgprWorkGroup2], s[sgprStrideDK] // Scale s[sgprWorkGroup2] by Stride
s_mul_i32 s58, s[sgprWorkGroup2], s[sgprStrideDK]  // Scale s[sgprWorkGroup2] by Stride
s_lshl_b64 s[58:59], s[58:59], 1                   // scale by bpe
s_add_u32 s[sgprSrdD+0], s[sgprSrdD+0], s58        // add lo to SRD
s_addc_u32 s[sgprSrdD+1], s[sgprSrdD+1], s59       // add hi to SRD


	;; [unrolled: 1-line block ×3, first 2 shown]
/* shift vector components d0 */

v_mov_b32 v129, s[sgprWorkGroup0]                  // 
v_mul_i32_i24 v129, -0x100, v129                   // wg*MT
_v_add_co_u32 v129, vcc, s[sgprSizesFree+0], v129  // wgMT = Size - wg*MT
v_mov_b32 v128, 0x100                              // MT
v_min_u32 v129, v128, v129                         // wgMT = (wgMT < MT) ? wgMT : MT
v_lshrrev_b32 v128, 2, v129                        // v128 = v129 / 4
v_and_b32 v130, 7, v129                            // v130 = v129 % 8
v_and_b32 v131, 15, v128                           // v131 = v128 % 16
v_and_b32 v132, 15, v[vgprSerial]                  // v132 = v[vgprSerial] % 16
v_lshrrev_b32 v133, 6, v129                        // v133 = v129 / 64
v_and_b32 v134, 3, v129                            // v134 = v129 % 4
v_mov_b32 v135, v134                               // duplicate
v_lshrrev_b32 v134, 3, v135                        // v134 = v135 / 8
_v_add_co_u32 v134, vcc, v133, v134                // vId = 2 components
v_cmp_eq_u32 vcc, v130, 0x1                        // wgMT%VW == 1
s_cbranch_vccnz label_0015                         // shift d0 r=1
v_cmp_eq_u32 vcc, v130, 0x2                        // wgMT%VW == 2
s_cbranch_vccnz label_0018                         // shift d0 r=2
v_cmp_eq_u32 vcc, v130, 0x3                        // wgMT%VW == 3
s_cbranch_vccnz label_0021                         // shift d0 r=3
v_cmp_eq_u32 vcc, v130, 0x4                        // wgMT%VW == 4
s_cbranch_vccnz label_0024                         // shift d0 r=4
v_cmp_eq_u32 vcc, v130, 0x5                        // wgMT%VW == 5
s_cbranch_vccnz label_0027                         // shift d0 r=5
v_cmp_eq_u32 vcc, v130, 0x6                        // wgMT%VW == 6
s_cbranch_vccnz label_0030                         // shift d0 r=6
v_cmp_eq_u32 vcc, v130, 0x7                        // wgMT%VW == 7
s_cbranch_vccnz label_0033                         // shift d0 r=7
s_branch label_0036                                // no shifting

/******************************************/
/* shift d0 r=1                           */
/******************************************/
label_0015:
v_cmp_eq_u32 vcc, v134, 0x0                        // wgMT/(SG*VW) == 0
s_cbranch_vccnz label_0016                         // shift d0, r=1, v=0
v_cmp_eq_u32 vcc, v134, 0x1                        // wgMT/(SG*VW) == 1
s_cbranch_vccnz label_0017                         // shift d0, r=1, v=1

/* shift d0 r=1 v=0 */
label_0016:
_v_cmpx_eq_u32 s[10:11], v132, v131                // serial % SG == (wgMT/VECTOR_WIDTH)%SG
// src=7, dst=0
// 1, 0, 0, 0, 0, 7
// srcLo=0, dstLo=1
v_lshrrev_b32 v0, 0x10, v3                         // hi16 -> lo16
// src=23, dst=16
// 1, 0, 1, 0, 16, 23
// srcLo=0, dstLo=1
v_lshrrev_b32 v8, 0x10, v11                        // hi16 -> lo16
// src=39, dst=32
// 1, 0, 2, 0, 32, 39
// srcLo=0, dstLo=1
v_lshrrev_b32 v16, 0x10, v19                       // hi16 -> lo16
// src=55, dst=48
// 1, 0, 3, 0, 48, 55
// srcLo=0, dstLo=1
v_lshrrev_b32 v24, 0x10, v27                       // hi16 -> lo16
	;; [unrolled: 4-line block ×11, first 2 shown]
// src=215, dst=208
// 1, 0, 13, 0, 208, 215
// srcLo=0, dstLo=1
v_lshrrev_b32 v104, 0x10, v107                     // hi16 -> lo16
// src=231, dst=224
// 1, 0, 14, 0, 224, 231
// srcLo=0, dstLo=1
v_lshrrev_b32 v112, 0x10, v115                     // hi16 -> lo16
	;; [unrolled: 4-line block ×3, first 2 shown]
s_mov_b64 s[10:11], 0xFFFFFFFFFFFFFFFF             // to restore all threads active
s_or_saveexec_b64 vcc, s[10:11]                    // all threads active
s_branch label_0036                                // done shifting

/* shift d0 r=1 v=1 */
label_0017:
_v_cmpx_eq_u32 s[10:11], v132, v131                // serial % SG == (wgMT/VECTOR_WIDTH)%SG
// src=15, dst=8
// 1, 1, 0, 0, 8, 15
// srcLo=0, dstLo=1
v_lshrrev_b32 v4, 0x10, v7                         // hi16 -> lo16
// src=31, dst=24
// 1, 1, 1, 0, 24, 31
// srcLo=0, dstLo=1
v_lshrrev_b32 v12, 0x10, v15                       // hi16 -> lo16
// src=47, dst=40
// 1, 1, 2, 0, 40, 47
// srcLo=0, dstLo=1
v_lshrrev_b32 v20, 0x10, v23                       // hi16 -> lo16
	;; [unrolled: 4-line block ×11, first 2 shown]
// src=207, dst=200
// 1, 1, 12, 0, 200, 207
// srcLo=0, dstLo=1
v_lshrrev_b32 v100, 0x10, v103                     // hi16 -> lo16
// src=223, dst=216
// 1, 1, 13, 0, 216, 223
// srcLo=0, dstLo=1
v_lshrrev_b32 v108, 0x10, v111                     // hi16 -> lo16
	;; [unrolled: 4-line block ×4, first 2 shown]
s_mov_b64 s[10:11], 0xFFFFFFFFFFFFFFFF             // to restore all threads active
s_or_saveexec_b64 vcc, s[10:11]                    // all threads active
s_branch label_0036                                // done shifting

/******************************************/
/* shift d0 r=2                           */
/******************************************/
label_0018:
v_cmp_eq_u32 vcc, v134, 0x0                        // wgMT/(SG*VW) == 0
s_cbranch_vccnz label_0019                         // shift d0, r=2, v=0
v_cmp_eq_u32 vcc, v134, 0x1                        // wgMT/(SG*VW) == 1
s_cbranch_vccnz label_0020                         // shift d0, r=2, v=1

/* shift d0 r=2 v=0 */
label_0019:
_v_cmpx_eq_u32 s[10:11], v132, v131                // serial % SG == (wgMT/VECTOR_WIDTH)%SG
// src=6, dst=0
// 2, 0, 0, 0, 0, 6
v_mov_b32 v0, v3                                   // rC[0+0*VW+0*TT0I] = rC[6+0*VW+0*TT0I]
// src=7, dst=1
// 2, 0, 0, 1, 1, 7
// src=22, dst=16
// 2, 0, 1, 0, 16, 22
v_mov_b32 v8, v11                                  // rC[0+0*VW+1*TT0I] = rC[6+0*VW+1*TT0I]
// src=23, dst=17
// 2, 0, 1, 1, 17, 23
// src=38, dst=32
// 2, 0, 2, 0, 32, 38
v_mov_b32 v16, v19                                 // rC[0+0*VW+2*TT0I] = rC[6+0*VW+2*TT0I]
// src=39, dst=33
// 2, 0, 2, 1, 33, 39
// src=54, dst=48
// 2, 0, 3, 0, 48, 54
v_mov_b32 v24, v27                                 // rC[0+0*VW+3*TT0I] = rC[6+0*VW+3*TT0I]
	;; [unrolled: 5-line block ×11, first 2 shown]
// src=199, dst=193
// 2, 0, 12, 1, 193, 199
// src=214, dst=208
// 2, 0, 13, 0, 208, 214
v_mov_b32 v104, v107                               // rC[0+0*VW+13*TT0I] = rC[6+0*VW+13*TT0I]
// src=215, dst=209
// 2, 0, 13, 1, 209, 215
// src=230, dst=224
// 2, 0, 14, 0, 224, 230
v_mov_b32 v112, v115                               // rC[0+0*VW+14*TT0I] = rC[6+0*VW+14*TT0I]
	;; [unrolled: 5-line block ×3, first 2 shown]
// src=247, dst=241
// 2, 0, 15, 1, 241, 247
s_mov_b64 s[10:11], 0xFFFFFFFFFFFFFFFF             // to restore all threads active
s_or_saveexec_b64 vcc, s[10:11]                    // all threads active
s_branch label_0036                                // done shifting

/* shift d0 r=2 v=1 */
label_0020:
_v_cmpx_eq_u32 s[10:11], v132, v131                // serial % SG == (wgMT/VECTOR_WIDTH)%SG
// src=14, dst=8
// 2, 1, 0, 0, 8, 14
v_mov_b32 v4, v7                                   // rC[0+1*VW+0*TT0I] = rC[6+1*VW+0*TT0I]
// src=15, dst=9
// 2, 1, 0, 1, 9, 15
// src=30, dst=24
// 2, 1, 1, 0, 24, 30
v_mov_b32 v12, v15                                 // rC[0+1*VW+1*TT0I] = rC[6+1*VW+1*TT0I]
// src=31, dst=25
// 2, 1, 1, 1, 25, 31
// src=46, dst=40
// 2, 1, 2, 0, 40, 46
v_mov_b32 v20, v23                                 // rC[0+1*VW+2*TT0I] = rC[6+1*VW+2*TT0I]
	;; [unrolled: 5-line block ×11, first 2 shown]
// src=191, dst=185
// 2, 1, 11, 1, 185, 191
// src=206, dst=200
// 2, 1, 12, 0, 200, 206
v_mov_b32 v100, v103                               // rC[0+1*VW+12*TT0I] = rC[6+1*VW+12*TT0I]
// src=207, dst=201
// 2, 1, 12, 1, 201, 207
// src=222, dst=216
// 2, 1, 13, 0, 216, 222
v_mov_b32 v108, v111                               // rC[0+1*VW+13*TT0I] = rC[6+1*VW+13*TT0I]
	;; [unrolled: 5-line block ×4, first 2 shown]
// src=255, dst=249
// 2, 1, 15, 1, 249, 255
s_mov_b64 s[10:11], 0xFFFFFFFFFFFFFFFF             // to restore all threads active
s_or_saveexec_b64 vcc, s[10:11]                    // all threads active
s_branch label_0036                                // done shifting

/******************************************/
/* shift d0 r=3                           */
/******************************************/
label_0021:
v_cmp_eq_u32 vcc, v134, 0x0                        // wgMT/(SG*VW) == 0
s_cbranch_vccnz label_0022                         // shift d0, r=3, v=0
v_cmp_eq_u32 vcc, v134, 0x1                        // wgMT/(SG*VW) == 1
s_cbranch_vccnz label_0023                         // shift d0, r=3, v=1

/* shift d0 r=3 v=0 */
label_0022:
_v_cmpx_eq_u32 s[10:11], v132, v131                // serial % SG == (wgMT/VECTOR_WIDTH)%SG
// src=5, dst=0
// 3, 0, 0, 0, 0, 5
// srcLo=0, dstLo=1
v_lshrrev_b32 v0, 0x10, v2                         // hi16 -> lo16
// src=6, dst=1
// 3, 0, 0, 1, 1, 6
// srcLo=1, dstLo=0
v_and_b32 v0, 0x0000FFFF, v0                       // zero out dst hi16
v_lshlrev_b32 v133, 0x10, v3                       // left shift src 16 bits
v_or_b32 v0, v133, v0                              // dst = tmpSrc | dst
// src=7, dst=2
// 3, 0, 0, 2, 2, 7
// srcLo=0, dstLo=1
v_lshrrev_b32 v1, 0x10, v3                         // hi16 -> lo16
// src=21, dst=16
// 3, 0, 1, 0, 16, 21
// srcLo=0, dstLo=1
v_lshrrev_b32 v8, 0x10, v10                        // hi16 -> lo16
// src=22, dst=17
// 3, 0, 1, 1, 17, 22
// srcLo=1, dstLo=0
v_and_b32 v8, 0x0000FFFF, v8                       // zero out dst hi16
v_lshlrev_b32 v133, 0x10, v11                      // left shift src 16 bits
v_or_b32 v8, v133, v8                              // dst = tmpSrc | dst
// src=23, dst=18
// 3, 0, 1, 2, 18, 23
// srcLo=0, dstLo=1
v_lshrrev_b32 v9, 0x10, v11                        // hi16 -> lo16
// src=37, dst=32
// 3, 0, 2, 0, 32, 37
// srcLo=0, dstLo=1
v_lshrrev_b32 v16, 0x10, v18                       // hi16 -> lo16
// src=38, dst=33
// 3, 0, 2, 1, 33, 38
// srcLo=1, dstLo=0
v_and_b32 v16, 0x0000FFFF, v16                     // zero out dst hi16
v_lshlrev_b32 v133, 0x10, v19                      // left shift src 16 bits
v_or_b32 v16, v133, v16                            // dst = tmpSrc | dst
// src=39, dst=34
// 3, 0, 2, 2, 34, 39
// srcLo=0, dstLo=1
v_lshrrev_b32 v17, 0x10, v19                       // hi16 -> lo16
// src=53, dst=48
// 3, 0, 3, 0, 48, 53
// srcLo=0, dstLo=1
v_lshrrev_b32 v24, 0x10, v26                       // hi16 -> lo16
// src=54, dst=49
// 3, 0, 3, 1, 49, 54
// srcLo=1, dstLo=0
v_and_b32 v24, 0x0000FFFF, v24                     // zero out dst hi16
v_lshlrev_b32 v133, 0x10, v27                      // left shift src 16 bits
v_or_b32 v24, v133, v24                            // dst = tmpSrc | dst
// src=55, dst=50
// 3, 0, 3, 2, 50, 55
// srcLo=0, dstLo=1
v_lshrrev_b32 v25, 0x10, v27                       // hi16 -> lo16
	;; [unrolled: 14-line block ×11, first 2 shown]
// src=213, dst=208
// 3, 0, 13, 0, 208, 213
// srcLo=0, dstLo=1
v_lshrrev_b32 v104, 0x10, v106                     // hi16 -> lo16
// src=214, dst=209
// 3, 0, 13, 1, 209, 214
// srcLo=1, dstLo=0
v_and_b32 v104, 0x0000FFFF, v104                   // zero out dst hi16
v_lshlrev_b32 v133, 0x10, v107                     // left shift src 16 bits
v_or_b32 v104, v133, v104                          // dst = tmpSrc | dst
// src=215, dst=210
// 3, 0, 13, 2, 210, 215
// srcLo=0, dstLo=1
v_lshrrev_b32 v105, 0x10, v107                     // hi16 -> lo16
// src=229, dst=224
// 3, 0, 14, 0, 224, 229
// srcLo=0, dstLo=1
v_lshrrev_b32 v112, 0x10, v114                     // hi16 -> lo16
// src=230, dst=225
// 3, 0, 14, 1, 225, 230
// srcLo=1, dstLo=0
v_and_b32 v112, 0x0000FFFF, v112                   // zero out dst hi16
v_lshlrev_b32 v133, 0x10, v115                     // left shift src 16 bits
v_or_b32 v112, v133, v112                          // dst = tmpSrc | dst
// src=231, dst=226
// 3, 0, 14, 2, 226, 231
// srcLo=0, dstLo=1
v_lshrrev_b32 v113, 0x10, v115                     // hi16 -> lo16
	;; [unrolled: 14-line block ×3, first 2 shown]
s_mov_b64 s[10:11], 0xFFFFFFFFFFFFFFFF             // to restore all threads active
s_or_saveexec_b64 vcc, s[10:11]                    // all threads active
s_branch label_0036                                // done shifting

/* shift d0 r=3 v=1 */
label_0023:
_v_cmpx_eq_u32 s[10:11], v132, v131                // serial % SG == (wgMT/VECTOR_WIDTH)%SG
// src=13, dst=8
// 3, 1, 0, 0, 8, 13
// srcLo=0, dstLo=1
v_lshrrev_b32 v4, 0x10, v6                         // hi16 -> lo16
// src=14, dst=9
// 3, 1, 0, 1, 9, 14
// srcLo=1, dstLo=0
v_and_b32 v4, 0x0000FFFF, v4                       // zero out dst hi16
v_lshlrev_b32 v133, 0x10, v7                       // left shift src 16 bits
v_or_b32 v4, v133, v4                              // dst = tmpSrc | dst
// src=15, dst=10
// 3, 1, 0, 2, 10, 15
// srcLo=0, dstLo=1
v_lshrrev_b32 v5, 0x10, v7                         // hi16 -> lo16
// src=29, dst=24
// 3, 1, 1, 0, 24, 29
// srcLo=0, dstLo=1
v_lshrrev_b32 v12, 0x10, v14                       // hi16 -> lo16
// src=30, dst=25
// 3, 1, 1, 1, 25, 30
// srcLo=1, dstLo=0
v_and_b32 v12, 0x0000FFFF, v12                     // zero out dst hi16
v_lshlrev_b32 v133, 0x10, v15                      // left shift src 16 bits
v_or_b32 v12, v133, v12                            // dst = tmpSrc | dst
// src=31, dst=26
// 3, 1, 1, 2, 26, 31
// srcLo=0, dstLo=1
v_lshrrev_b32 v13, 0x10, v15                       // hi16 -> lo16
// src=45, dst=40
// 3, 1, 2, 0, 40, 45
// srcLo=0, dstLo=1
v_lshrrev_b32 v20, 0x10, v22                       // hi16 -> lo16
// src=46, dst=41
// 3, 1, 2, 1, 41, 46
// srcLo=1, dstLo=0
v_and_b32 v20, 0x0000FFFF, v20                     // zero out dst hi16
v_lshlrev_b32 v133, 0x10, v23                      // left shift src 16 bits
v_or_b32 v20, v133, v20                            // dst = tmpSrc | dst
// src=47, dst=42
// 3, 1, 2, 2, 42, 47
// srcLo=0, dstLo=1
v_lshrrev_b32 v21, 0x10, v23                       // hi16 -> lo16
	;; [unrolled: 14-line block ×11, first 2 shown]
// src=205, dst=200
// 3, 1, 12, 0, 200, 205
// srcLo=0, dstLo=1
v_lshrrev_b32 v100, 0x10, v102                     // hi16 -> lo16
// src=206, dst=201
// 3, 1, 12, 1, 201, 206
// srcLo=1, dstLo=0
v_and_b32 v100, 0x0000FFFF, v100                   // zero out dst hi16
v_lshlrev_b32 v133, 0x10, v103                     // left shift src 16 bits
v_or_b32 v100, v133, v100                          // dst = tmpSrc | dst
// src=207, dst=202
// 3, 1, 12, 2, 202, 207
// srcLo=0, dstLo=1
v_lshrrev_b32 v101, 0x10, v103                     // hi16 -> lo16
// src=221, dst=216
// 3, 1, 13, 0, 216, 221
// srcLo=0, dstLo=1
v_lshrrev_b32 v108, 0x10, v110                     // hi16 -> lo16
// src=222, dst=217
// 3, 1, 13, 1, 217, 222
// srcLo=1, dstLo=0
v_and_b32 v108, 0x0000FFFF, v108                   // zero out dst hi16
v_lshlrev_b32 v133, 0x10, v111                     // left shift src 16 bits
v_or_b32 v108, v133, v108                          // dst = tmpSrc | dst
// src=223, dst=218
// 3, 1, 13, 2, 218, 223
// srcLo=0, dstLo=1
v_lshrrev_b32 v109, 0x10, v111                     // hi16 -> lo16
	;; [unrolled: 14-line block ×4, first 2 shown]
s_mov_b64 s[10:11], 0xFFFFFFFFFFFFFFFF             // to restore all threads active
s_or_saveexec_b64 vcc, s[10:11]                    // all threads active
s_branch label_0036                                // done shifting

/******************************************/
/* shift d0 r=4                           */
/******************************************/
label_0024:
v_cmp_eq_u32 vcc, v134, 0x0                        // wgMT/(SG*VW) == 0
s_cbranch_vccnz label_0025                         // shift d0, r=4, v=0
v_cmp_eq_u32 vcc, v134, 0x1                        // wgMT/(SG*VW) == 1
s_cbranch_vccnz label_0026                         // shift d0, r=4, v=1

/* shift d0 r=4 v=0 */
label_0025:
_v_cmpx_eq_u32 s[10:11], v132, v131                // serial % SG == (wgMT/VECTOR_WIDTH)%SG
// src=4, dst=0
// 4, 0, 0, 0, 0, 4
v_mov_b32 v0, v2                                   // rC[0+0*VW+0*TT0I] = rC[4+0*VW+0*TT0I]
// src=5, dst=1
// 4, 0, 0, 1, 1, 5
// src=6, dst=2
// 4, 0, 0, 2, 2, 6
v_mov_b32 v1, v3                                   // rC[2+0*VW+0*TT0I] = rC[6+0*VW+0*TT0I]
// src=7, dst=3
// 4, 0, 0, 3, 3, 7
// src=20, dst=16
// 4, 0, 1, 0, 16, 20
v_mov_b32 v8, v10                                  // rC[0+0*VW+1*TT0I] = rC[4+0*VW+1*TT0I]
// src=21, dst=17
// 4, 0, 1, 1, 17, 21
// src=22, dst=18
// 4, 0, 1, 2, 18, 22
v_mov_b32 v9, v11                                  // rC[2+0*VW+1*TT0I] = rC[6+0*VW+1*TT0I]
// src=23, dst=19
// 4, 0, 1, 3, 19, 23
// src=36, dst=32
// 4, 0, 2, 0, 32, 36
v_mov_b32 v16, v18                                 // rC[0+0*VW+2*TT0I] = rC[4+0*VW+2*TT0I]
// src=37, dst=33
// 4, 0, 2, 1, 33, 37
// src=38, dst=34
// 4, 0, 2, 2, 34, 38
v_mov_b32 v17, v19                                 // rC[2+0*VW+2*TT0I] = rC[6+0*VW+2*TT0I]
	;; [unrolled: 5-line block ×22, first 2 shown]
// src=199, dst=195
// 4, 0, 12, 3, 195, 199
// src=212, dst=208
// 4, 0, 13, 0, 208, 212
v_mov_b32 v104, v106                               // rC[0+0*VW+13*TT0I] = rC[4+0*VW+13*TT0I]
// src=213, dst=209
// 4, 0, 13, 1, 209, 213
// src=214, dst=210
// 4, 0, 13, 2, 210, 214
v_mov_b32 v105, v107                               // rC[2+0*VW+13*TT0I] = rC[6+0*VW+13*TT0I]
	;; [unrolled: 5-line block ×6, first 2 shown]
// src=247, dst=243
// 4, 0, 15, 3, 243, 247
s_mov_b64 s[10:11], 0xFFFFFFFFFFFFFFFF             // to restore all threads active
s_or_saveexec_b64 vcc, s[10:11]                    // all threads active
s_branch label_0036                                // done shifting

/* shift d0 r=4 v=1 */
label_0026:
_v_cmpx_eq_u32 s[10:11], v132, v131                // serial % SG == (wgMT/VECTOR_WIDTH)%SG
// src=12, dst=8
// 4, 1, 0, 0, 8, 12
v_mov_b32 v4, v6                                   // rC[0+1*VW+0*TT0I] = rC[4+1*VW+0*TT0I]
// src=13, dst=9
// 4, 1, 0, 1, 9, 13
// src=14, dst=10
// 4, 1, 0, 2, 10, 14
v_mov_b32 v5, v7                                   // rC[2+1*VW+0*TT0I] = rC[6+1*VW+0*TT0I]
// src=15, dst=11
// 4, 1, 0, 3, 11, 15
// src=28, dst=24
// 4, 1, 1, 0, 24, 28
v_mov_b32 v12, v14                                 // rC[0+1*VW+1*TT0I] = rC[4+1*VW+1*TT0I]
// src=29, dst=25
// 4, 1, 1, 1, 25, 29
// src=30, dst=26
// 4, 1, 1, 2, 26, 30
v_mov_b32 v13, v15                                 // rC[2+1*VW+1*TT0I] = rC[6+1*VW+1*TT0I]
	;; [unrolled: 5-line block ×22, first 2 shown]
// src=191, dst=187
// 4, 1, 11, 3, 187, 191
// src=204, dst=200
// 4, 1, 12, 0, 200, 204
v_mov_b32 v100, v102                               // rC[0+1*VW+12*TT0I] = rC[4+1*VW+12*TT0I]
// src=205, dst=201
// 4, 1, 12, 1, 201, 205
// src=206, dst=202
// 4, 1, 12, 2, 202, 206
v_mov_b32 v101, v103                               // rC[2+1*VW+12*TT0I] = rC[6+1*VW+12*TT0I]
	;; [unrolled: 5-line block ×8, first 2 shown]
// src=255, dst=251
// 4, 1, 15, 3, 251, 255
s_mov_b64 s[10:11], 0xFFFFFFFFFFFFFFFF             // to restore all threads active
s_or_saveexec_b64 vcc, s[10:11]                    // all threads active
s_branch label_0036                                // done shifting

/******************************************/
/* shift d0 r=5                           */
/******************************************/
label_0027:
v_cmp_eq_u32 vcc, v134, 0x0                        // wgMT/(SG*VW) == 0
s_cbranch_vccnz label_0028                         // shift d0, r=5, v=0
v_cmp_eq_u32 vcc, v134, 0x1                        // wgMT/(SG*VW) == 1
s_cbranch_vccnz label_0029                         // shift d0, r=5, v=1

/* shift d0 r=5 v=0 */
label_0028:
_v_cmpx_eq_u32 s[10:11], v132, v131                // serial % SG == (wgMT/VECTOR_WIDTH)%SG
// src=3, dst=0
// 5, 0, 0, 0, 0, 3
// srcLo=0, dstLo=1
v_lshrrev_b32 v0, 0x10, v1                         // hi16 -> lo16
// src=4, dst=1
// 5, 0, 0, 1, 1, 4
// srcLo=1, dstLo=0
v_and_b32 v0, 0x0000FFFF, v0                       // zero out dst hi16
v_lshlrev_b32 v133, 0x10, v2                       // left shift src 16 bits
v_or_b32 v0, v133, v0                              // dst = tmpSrc | dst
// src=5, dst=2
// 5, 0, 0, 2, 2, 5
// srcLo=0, dstLo=1
v_lshrrev_b32 v1, 0x10, v2                         // hi16 -> lo16
// src=6, dst=3
// 5, 0, 0, 3, 3, 6
// srcLo=1, dstLo=0
v_and_b32 v1, 0x0000FFFF, v1                       // zero out dst hi16
v_lshlrev_b32 v133, 0x10, v3                       // left shift src 16 bits
v_or_b32 v1, v133, v1                              // dst = tmpSrc | dst
// src=7, dst=4
// 5, 0, 0, 4, 4, 7
// srcLo=0, dstLo=1
v_lshrrev_b32 v2, 0x10, v3                         // hi16 -> lo16
// src=19, dst=16
// 5, 0, 1, 0, 16, 19
// srcLo=0, dstLo=1
v_lshrrev_b32 v8, 0x10, v9                         // hi16 -> lo16
// src=20, dst=17
// 5, 0, 1, 1, 17, 20
// srcLo=1, dstLo=0
v_and_b32 v8, 0x0000FFFF, v8                       // zero out dst hi16
v_lshlrev_b32 v133, 0x10, v10                      // left shift src 16 bits
v_or_b32 v8, v133, v8                              // dst = tmpSrc | dst
// src=21, dst=18
// 5, 0, 1, 2, 18, 21
// srcLo=0, dstLo=1
v_lshrrev_b32 v9, 0x10, v10                        // hi16 -> lo16
// src=22, dst=19
// 5, 0, 1, 3, 19, 22
// srcLo=1, dstLo=0
v_and_b32 v9, 0x0000FFFF, v9                       // zero out dst hi16
v_lshlrev_b32 v133, 0x10, v11                      // left shift src 16 bits
v_or_b32 v9, v133, v9                              // dst = tmpSrc | dst
// src=23, dst=20
// 5, 0, 1, 4, 20, 23
// srcLo=0, dstLo=1
v_lshrrev_b32 v10, 0x10, v11                       // hi16 -> lo16
// src=35, dst=32
// 5, 0, 2, 0, 32, 35
// srcLo=0, dstLo=1
v_lshrrev_b32 v16, 0x10, v17                       // hi16 -> lo16
// src=36, dst=33
// 5, 0, 2, 1, 33, 36
// srcLo=1, dstLo=0
v_and_b32 v16, 0x0000FFFF, v16                     // zero out dst hi16
v_lshlrev_b32 v133, 0x10, v18                      // left shift src 16 bits
v_or_b32 v16, v133, v16                            // dst = tmpSrc | dst
// src=37, dst=34
// 5, 0, 2, 2, 34, 37
// srcLo=0, dstLo=1
v_lshrrev_b32 v17, 0x10, v18                       // hi16 -> lo16
// src=38, dst=35
// 5, 0, 2, 3, 35, 38
// srcLo=1, dstLo=0
v_and_b32 v17, 0x0000FFFF, v17                     // zero out dst hi16
v_lshlrev_b32 v133, 0x10, v19                      // left shift src 16 bits
v_or_b32 v17, v133, v17                            // dst = tmpSrc | dst
// src=39, dst=36
// 5, 0, 2, 4, 36, 39
// srcLo=0, dstLo=1
v_lshrrev_b32 v18, 0x10, v19                       // hi16 -> lo16
// src=51, dst=48
// 5, 0, 3, 0, 48, 51
// srcLo=0, dstLo=1
v_lshrrev_b32 v24, 0x10, v25                       // hi16 -> lo16
// src=52, dst=49
// 5, 0, 3, 1, 49, 52
// srcLo=1, dstLo=0
v_and_b32 v24, 0x0000FFFF, v24                     // zero out dst hi16
v_lshlrev_b32 v133, 0x10, v26                      // left shift src 16 bits
v_or_b32 v24, v133, v24                            // dst = tmpSrc | dst
// src=53, dst=50
// 5, 0, 3, 2, 50, 53
// srcLo=0, dstLo=1
v_lshrrev_b32 v25, 0x10, v26                       // hi16 -> lo16
// src=54, dst=51
// 5, 0, 3, 3, 51, 54
// srcLo=1, dstLo=0
v_and_b32 v25, 0x0000FFFF, v25                     // zero out dst hi16
v_lshlrev_b32 v133, 0x10, v27                      // left shift src 16 bits
v_or_b32 v25, v133, v25                            // dst = tmpSrc | dst
	;; [unrolled: 24-line block ×11, first 2 shown]
// src=199, dst=196
// 5, 0, 12, 4, 196, 199
// srcLo=0, dstLo=1
v_lshrrev_b32 v98, 0x10, v99                       // hi16 -> lo16
// src=211, dst=208
// 5, 0, 13, 0, 208, 211
// srcLo=0, dstLo=1
v_lshrrev_b32 v104, 0x10, v105                     // hi16 -> lo16
// src=212, dst=209
// 5, 0, 13, 1, 209, 212
// srcLo=1, dstLo=0
v_and_b32 v104, 0x0000FFFF, v104                   // zero out dst hi16
v_lshlrev_b32 v133, 0x10, v106                     // left shift src 16 bits
v_or_b32 v104, v133, v104                          // dst = tmpSrc | dst
// src=213, dst=210
// 5, 0, 13, 2, 210, 213
// srcLo=0, dstLo=1
v_lshrrev_b32 v105, 0x10, v106                     // hi16 -> lo16
// src=214, dst=211
// 5, 0, 13, 3, 211, 214
// srcLo=1, dstLo=0
v_and_b32 v105, 0x0000FFFF, v105                   // zero out dst hi16
v_lshlrev_b32 v133, 0x10, v107                     // left shift src 16 bits
v_or_b32 v105, v133, v105                          // dst = tmpSrc | dst
// src=215, dst=212
// 5, 0, 13, 4, 212, 215
// srcLo=0, dstLo=1
v_lshrrev_b32 v106, 0x10, v107                     // hi16 -> lo16
// src=227, dst=224
// 5, 0, 14, 0, 224, 227
// srcLo=0, dstLo=1
v_lshrrev_b32 v112, 0x10, v113                     // hi16 -> lo16
// src=228, dst=225
// 5, 0, 14, 1, 225, 228
// srcLo=1, dstLo=0
v_and_b32 v112, 0x0000FFFF, v112                   // zero out dst hi16
v_lshlrev_b32 v133, 0x10, v114                     // left shift src 16 bits
v_or_b32 v112, v133, v112                          // dst = tmpSrc | dst
// src=229, dst=226
// 5, 0, 14, 2, 226, 229
// srcLo=0, dstLo=1
v_lshrrev_b32 v113, 0x10, v114                     // hi16 -> lo16
// src=230, dst=227
// 5, 0, 14, 3, 227, 230
// srcLo=1, dstLo=0
v_and_b32 v113, 0x0000FFFF, v113                   // zero out dst hi16
v_lshlrev_b32 v133, 0x10, v115                     // left shift src 16 bits
v_or_b32 v113, v133, v113                          // dst = tmpSrc | dst
// src=231, dst=228
// 5, 0, 14, 4, 228, 231
// srcLo=0, dstLo=1
v_lshrrev_b32 v114, 0x10, v115                     // hi16 -> lo16
	;; [unrolled: 24-line block ×3, first 2 shown]
s_mov_b64 s[10:11], 0xFFFFFFFFFFFFFFFF             // to restore all threads active
s_or_saveexec_b64 vcc, s[10:11]                    // all threads active
s_branch label_0036                                // done shifting

/* shift d0 r=5 v=1 */
label_0029:
_v_cmpx_eq_u32 s[10:11], v132, v131                // serial % SG == (wgMT/VECTOR_WIDTH)%SG
// src=11, dst=8
// 5, 1, 0, 0, 8, 11
// srcLo=0, dstLo=1
v_lshrrev_b32 v4, 0x10, v5                         // hi16 -> lo16
// src=12, dst=9
// 5, 1, 0, 1, 9, 12
// srcLo=1, dstLo=0
v_and_b32 v4, 0x0000FFFF, v4                       // zero out dst hi16
v_lshlrev_b32 v133, 0x10, v6                       // left shift src 16 bits
v_or_b32 v4, v133, v4                              // dst = tmpSrc | dst
// src=13, dst=10
// 5, 1, 0, 2, 10, 13
// srcLo=0, dstLo=1
v_lshrrev_b32 v5, 0x10, v6                         // hi16 -> lo16
// src=14, dst=11
// 5, 1, 0, 3, 11, 14
// srcLo=1, dstLo=0
v_and_b32 v5, 0x0000FFFF, v5                       // zero out dst hi16
v_lshlrev_b32 v133, 0x10, v7                       // left shift src 16 bits
v_or_b32 v5, v133, v5                              // dst = tmpSrc | dst
// src=15, dst=12
// 5, 1, 0, 4, 12, 15
// srcLo=0, dstLo=1
v_lshrrev_b32 v6, 0x10, v7                         // hi16 -> lo16
// src=27, dst=24
// 5, 1, 1, 0, 24, 27
// srcLo=0, dstLo=1
v_lshrrev_b32 v12, 0x10, v13                       // hi16 -> lo16
// src=28, dst=25
// 5, 1, 1, 1, 25, 28
// srcLo=1, dstLo=0
v_and_b32 v12, 0x0000FFFF, v12                     // zero out dst hi16
v_lshlrev_b32 v133, 0x10, v14                      // left shift src 16 bits
v_or_b32 v12, v133, v12                            // dst = tmpSrc | dst
// src=29, dst=26
// 5, 1, 1, 2, 26, 29
// srcLo=0, dstLo=1
v_lshrrev_b32 v13, 0x10, v14                       // hi16 -> lo16
// src=30, dst=27
// 5, 1, 1, 3, 27, 30
// srcLo=1, dstLo=0
v_and_b32 v13, 0x0000FFFF, v13                     // zero out dst hi16
v_lshlrev_b32 v133, 0x10, v15                      // left shift src 16 bits
v_or_b32 v13, v133, v13                            // dst = tmpSrc | dst
// src=31, dst=28
// 5, 1, 1, 4, 28, 31
// srcLo=0, dstLo=1
v_lshrrev_b32 v14, 0x10, v15                       // hi16 -> lo16
// src=43, dst=40
// 5, 1, 2, 0, 40, 43
// srcLo=0, dstLo=1
v_lshrrev_b32 v20, 0x10, v21                       // hi16 -> lo16
// src=44, dst=41
// 5, 1, 2, 1, 41, 44
// srcLo=1, dstLo=0
v_and_b32 v20, 0x0000FFFF, v20                     // zero out dst hi16
v_lshlrev_b32 v133, 0x10, v22                      // left shift src 16 bits
v_or_b32 v20, v133, v20                            // dst = tmpSrc | dst
// src=45, dst=42
// 5, 1, 2, 2, 42, 45
// srcLo=0, dstLo=1
v_lshrrev_b32 v21, 0x10, v22                       // hi16 -> lo16
// src=46, dst=43
// 5, 1, 2, 3, 43, 46
// srcLo=1, dstLo=0
v_and_b32 v21, 0x0000FFFF, v21                     // zero out dst hi16
v_lshlrev_b32 v133, 0x10, v23                      // left shift src 16 bits
v_or_b32 v21, v133, v21                            // dst = tmpSrc | dst
// src=47, dst=44
// 5, 1, 2, 4, 44, 47
// srcLo=0, dstLo=1
v_lshrrev_b32 v22, 0x10, v23                       // hi16 -> lo16
	;; [unrolled: 24-line block ×11, first 2 shown]
// src=203, dst=200
// 5, 1, 12, 0, 200, 203
// srcLo=0, dstLo=1
v_lshrrev_b32 v100, 0x10, v101                     // hi16 -> lo16
// src=204, dst=201
// 5, 1, 12, 1, 201, 204
// srcLo=1, dstLo=0
v_and_b32 v100, 0x0000FFFF, v100                   // zero out dst hi16
v_lshlrev_b32 v133, 0x10, v102                     // left shift src 16 bits
v_or_b32 v100, v133, v100                          // dst = tmpSrc | dst
// src=205, dst=202
// 5, 1, 12, 2, 202, 205
// srcLo=0, dstLo=1
v_lshrrev_b32 v101, 0x10, v102                     // hi16 -> lo16
// src=206, dst=203
// 5, 1, 12, 3, 203, 206
// srcLo=1, dstLo=0
v_and_b32 v101, 0x0000FFFF, v101                   // zero out dst hi16
v_lshlrev_b32 v133, 0x10, v103                     // left shift src 16 bits
v_or_b32 v101, v133, v101                          // dst = tmpSrc | dst
// src=207, dst=204
// 5, 1, 12, 4, 204, 207
// srcLo=0, dstLo=1
v_lshrrev_b32 v102, 0x10, v103                     // hi16 -> lo16
// src=219, dst=216
// 5, 1, 13, 0, 216, 219
// srcLo=0, dstLo=1
v_lshrrev_b32 v108, 0x10, v109                     // hi16 -> lo16
// src=220, dst=217
// 5, 1, 13, 1, 217, 220
// srcLo=1, dstLo=0
v_and_b32 v108, 0x0000FFFF, v108                   // zero out dst hi16
v_lshlrev_b32 v133, 0x10, v110                     // left shift src 16 bits
v_or_b32 v108, v133, v108                          // dst = tmpSrc | dst
// src=221, dst=218
// 5, 1, 13, 2, 218, 221
// srcLo=0, dstLo=1
v_lshrrev_b32 v109, 0x10, v110                     // hi16 -> lo16
// src=222, dst=219
// 5, 1, 13, 3, 219, 222
// srcLo=1, dstLo=0
v_and_b32 v109, 0x0000FFFF, v109                   // zero out dst hi16
v_lshlrev_b32 v133, 0x10, v111                     // left shift src 16 bits
v_or_b32 v109, v133, v109                          // dst = tmpSrc | dst
// src=223, dst=220
// 5, 1, 13, 4, 220, 223
// srcLo=0, dstLo=1
v_lshrrev_b32 v110, 0x10, v111                     // hi16 -> lo16
// src=235, dst=232
// 5, 1, 14, 0, 232, 235
// srcLo=0, dstLo=1
v_lshrrev_b32 v116, 0x10, v117                     // hi16 -> lo16
// src=236, dst=233
// 5, 1, 14, 1, 233, 236
// srcLo=1, dstLo=0
v_and_b32 v116, 0x0000FFFF, v116                   // zero out dst hi16
v_lshlrev_b32 v133, 0x10, v118                     // left shift src 16 bits
v_or_b32 v116, v133, v116                          // dst = tmpSrc | dst
// src=237, dst=234
// 5, 1, 14, 2, 234, 237
// srcLo=0, dstLo=1
v_lshrrev_b32 v117, 0x10, v118                     // hi16 -> lo16
// src=238, dst=235
// 5, 1, 14, 3, 235, 238
// srcLo=1, dstLo=0
v_and_b32 v117, 0x0000FFFF, v117                   // zero out dst hi16
v_lshlrev_b32 v133, 0x10, v119                     // left shift src 16 bits
v_or_b32 v117, v133, v117                          // dst = tmpSrc | dst
// src=239, dst=236
// 5, 1, 14, 4, 236, 239
// srcLo=0, dstLo=1
v_lshrrev_b32 v118, 0x10, v119                     // hi16 -> lo16
// src=251, dst=248
// 5, 1, 15, 0, 248, 251
// srcLo=0, dstLo=1
v_lshrrev_b32 v124, 0x10, v125                     // hi16 -> lo16
// src=252, dst=249
// 5, 1, 15, 1, 249, 252
// srcLo=1, dstLo=0
v_and_b32 v124, 0x0000FFFF, v124                   // zero out dst hi16
v_lshlrev_b32 v133, 0x10, v126                     // left shift src 16 bits
v_or_b32 v124, v133, v124                          // dst = tmpSrc | dst
// src=253, dst=250
// 5, 1, 15, 2, 250, 253
// srcLo=0, dstLo=1
v_lshrrev_b32 v125, 0x10, v126                     // hi16 -> lo16
// src=254, dst=251
// 5, 1, 15, 3, 251, 254
// srcLo=1, dstLo=0
v_and_b32 v125, 0x0000FFFF, v125                   // zero out dst hi16
v_lshlrev_b32 v133, 0x10, v127                     // left shift src 16 bits
v_or_b32 v125, v133, v125                          // dst = tmpSrc | dst
// src=255, dst=252
// 5, 1, 15, 4, 252, 255
// srcLo=0, dstLo=1
v_lshrrev_b32 v126, 0x10, v127                     // hi16 -> lo16
s_mov_b64 s[10:11], 0xFFFFFFFFFFFFFFFF             // to restore all threads active
s_or_saveexec_b64 vcc, s[10:11]                    // all threads active
s_branch label_0036                                // done shifting

/******************************************/
/* shift d0 r=6                           */
/******************************************/
label_0030:
v_cmp_eq_u32 vcc, v134, 0x0                        // wgMT/(SG*VW) == 0
s_cbranch_vccnz label_0031                         // shift d0, r=6, v=0
v_cmp_eq_u32 vcc, v134, 0x1                        // wgMT/(SG*VW) == 1
s_cbranch_vccnz label_0032                         // shift d0, r=6, v=1

/* shift d0 r=6 v=0 */
label_0031:
_v_cmpx_eq_u32 s[10:11], v132, v131                // serial % SG == (wgMT/VECTOR_WIDTH)%SG
// src=2, dst=0
// 6, 0, 0, 0, 0, 2
v_mov_b32 v0, v1                                   // rC[0+0*VW+0*TT0I] = rC[2+0*VW+0*TT0I]
// src=3, dst=1
// 6, 0, 0, 1, 1, 3
// src=4, dst=2
// 6, 0, 0, 2, 2, 4
v_mov_b32 v1, v2                                   // rC[2+0*VW+0*TT0I] = rC[4+0*VW+0*TT0I]
// src=5, dst=3
// 6, 0, 0, 3, 3, 5
// src=6, dst=4
// 6, 0, 0, 4, 4, 6
v_mov_b32 v2, v3                                   // rC[4+0*VW+0*TT0I] = rC[6+0*VW+0*TT0I]
// src=7, dst=5
// 6, 0, 0, 5, 5, 7
// src=18, dst=16
// 6, 0, 1, 0, 16, 18
v_mov_b32 v8, v9                                   // rC[0+0*VW+1*TT0I] = rC[2+0*VW+1*TT0I]
// src=19, dst=17
// 6, 0, 1, 1, 17, 19
// src=20, dst=18
// 6, 0, 1, 2, 18, 20
v_mov_b32 v9, v10                                  // rC[2+0*VW+1*TT0I] = rC[4+0*VW+1*TT0I]
// src=21, dst=19
// 6, 0, 1, 3, 19, 21
// src=22, dst=20
// 6, 0, 1, 4, 20, 22
v_mov_b32 v10, v11                                 // rC[4+0*VW+1*TT0I] = rC[6+0*VW+1*TT0I]
// src=23, dst=21
// 6, 0, 1, 5, 21, 23
// src=34, dst=32
// 6, 0, 2, 0, 32, 34
v_mov_b32 v16, v17                                 // rC[0+0*VW+2*TT0I] = rC[2+0*VW+2*TT0I]
// src=35, dst=33
// 6, 0, 2, 1, 33, 35
// src=36, dst=34
// 6, 0, 2, 2, 34, 36
v_mov_b32 v17, v18                                 // rC[2+0*VW+2*TT0I] = rC[4+0*VW+2*TT0I]
// src=37, dst=35
// 6, 0, 2, 3, 35, 37
// src=38, dst=36
// 6, 0, 2, 4, 36, 38
v_mov_b32 v18, v19                                 // rC[4+0*VW+2*TT0I] = rC[6+0*VW+2*TT0I]
// src=39, dst=37
// 6, 0, 2, 5, 37, 39
// src=50, dst=48
// 6, 0, 3, 0, 48, 50
v_mov_b32 v24, v25                                 // rC[0+0*VW+3*TT0I] = rC[2+0*VW+3*TT0I]
// src=51, dst=49
// 6, 0, 3, 1, 49, 51
// src=52, dst=50
// 6, 0, 3, 2, 50, 52
v_mov_b32 v25, v26                                 // rC[2+0*VW+3*TT0I] = rC[4+0*VW+3*TT0I]
// src=53, dst=51
// 6, 0, 3, 3, 51, 53
// src=54, dst=52
// 6, 0, 3, 4, 52, 54
v_mov_b32 v26, v27                                 // rC[4+0*VW+3*TT0I] = rC[6+0*VW+3*TT0I]
// src=55, dst=53
// 6, 0, 3, 5, 53, 55
// src=66, dst=64
// 6, 0, 4, 0, 64, 66
v_mov_b32 v32, v33                                 // rC[0+0*VW+4*TT0I] = rC[2+0*VW+4*TT0I]
// src=67, dst=65
// 6, 0, 4, 1, 65, 67
// src=68, dst=66
// 6, 0, 4, 2, 66, 68
v_mov_b32 v33, v34                                 // rC[2+0*VW+4*TT0I] = rC[4+0*VW+4*TT0I]
// src=69, dst=67
// 6, 0, 4, 3, 67, 69
// src=70, dst=68
// 6, 0, 4, 4, 68, 70
v_mov_b32 v34, v35                                 // rC[4+0*VW+4*TT0I] = rC[6+0*VW+4*TT0I]
// src=71, dst=69
// 6, 0, 4, 5, 69, 71
// src=82, dst=80
// 6, 0, 5, 0, 80, 82
v_mov_b32 v40, v41                                 // rC[0+0*VW+5*TT0I] = rC[2+0*VW+5*TT0I]
// src=83, dst=81
// 6, 0, 5, 1, 81, 83
// src=84, dst=82
// 6, 0, 5, 2, 82, 84
v_mov_b32 v41, v42                                 // rC[2+0*VW+5*TT0I] = rC[4+0*VW+5*TT0I]
// src=85, dst=83
// 6, 0, 5, 3, 83, 85
// src=86, dst=84
// 6, 0, 5, 4, 84, 86
v_mov_b32 v42, v43                                 // rC[4+0*VW+5*TT0I] = rC[6+0*VW+5*TT0I]
// src=87, dst=85
// 6, 0, 5, 5, 85, 87
// src=98, dst=96
// 6, 0, 6, 0, 96, 98
v_mov_b32 v48, v49                                 // rC[0+0*VW+6*TT0I] = rC[2+0*VW+6*TT0I]
// src=99, dst=97
// 6, 0, 6, 1, 97, 99
// src=100, dst=98
// 6, 0, 6, 2, 98, 100
v_mov_b32 v49, v50                                 // rC[2+0*VW+6*TT0I] = rC[4+0*VW+6*TT0I]
// src=101, dst=99
// 6, 0, 6, 3, 99, 101
// src=102, dst=100
// 6, 0, 6, 4, 100, 102
v_mov_b32 v50, v51                                 // rC[4+0*VW+6*TT0I] = rC[6+0*VW+6*TT0I]
// src=103, dst=101
// 6, 0, 6, 5, 101, 103
// src=114, dst=112
// 6, 0, 7, 0, 112, 114
v_mov_b32 v56, v57                                 // rC[0+0*VW+7*TT0I] = rC[2+0*VW+7*TT0I]
// src=115, dst=113
// 6, 0, 7, 1, 113, 115
// src=116, dst=114
// 6, 0, 7, 2, 114, 116
v_mov_b32 v57, v58                                 // rC[2+0*VW+7*TT0I] = rC[4+0*VW+7*TT0I]
// src=117, dst=115
// 6, 0, 7, 3, 115, 117
// src=118, dst=116
// 6, 0, 7, 4, 116, 118
v_mov_b32 v58, v59                                 // rC[4+0*VW+7*TT0I] = rC[6+0*VW+7*TT0I]
// src=119, dst=117
// 6, 0, 7, 5, 117, 119
// src=130, dst=128
// 6, 0, 8, 0, 128, 130
v_mov_b32 v64, v65                                 // rC[0+0*VW+8*TT0I] = rC[2+0*VW+8*TT0I]
// src=131, dst=129
// 6, 0, 8, 1, 129, 131
// src=132, dst=130
// 6, 0, 8, 2, 130, 132
v_mov_b32 v65, v66                                 // rC[2+0*VW+8*TT0I] = rC[4+0*VW+8*TT0I]
// src=133, dst=131
// 6, 0, 8, 3, 131, 133
// src=134, dst=132
// 6, 0, 8, 4, 132, 134
v_mov_b32 v66, v67                                 // rC[4+0*VW+8*TT0I] = rC[6+0*VW+8*TT0I]
// src=135, dst=133
// 6, 0, 8, 5, 133, 135
// src=146, dst=144
// 6, 0, 9, 0, 144, 146
v_mov_b32 v72, v73                                 // rC[0+0*VW+9*TT0I] = rC[2+0*VW+9*TT0I]
// src=147, dst=145
// 6, 0, 9, 1, 145, 147
// src=148, dst=146
// 6, 0, 9, 2, 146, 148
v_mov_b32 v73, v74                                 // rC[2+0*VW+9*TT0I] = rC[4+0*VW+9*TT0I]
// src=149, dst=147
// 6, 0, 9, 3, 147, 149
// src=150, dst=148
// 6, 0, 9, 4, 148, 150
v_mov_b32 v74, v75                                 // rC[4+0*VW+9*TT0I] = rC[6+0*VW+9*TT0I]
// src=151, dst=149
// 6, 0, 9, 5, 149, 151
// src=162, dst=160
// 6, 0, 10, 0, 160, 162
v_mov_b32 v80, v81                                 // rC[0+0*VW+10*TT0I] = rC[2+0*VW+10*TT0I]
// src=163, dst=161
// 6, 0, 10, 1, 161, 163
// src=164, dst=162
// 6, 0, 10, 2, 162, 164
v_mov_b32 v81, v82                                 // rC[2+0*VW+10*TT0I] = rC[4+0*VW+10*TT0I]
// src=165, dst=163
// 6, 0, 10, 3, 163, 165
// src=166, dst=164
// 6, 0, 10, 4, 164, 166
v_mov_b32 v82, v83                                 // rC[4+0*VW+10*TT0I] = rC[6+0*VW+10*TT0I]
// src=167, dst=165
// 6, 0, 10, 5, 165, 167
// src=178, dst=176
// 6, 0, 11, 0, 176, 178
v_mov_b32 v88, v89                                 // rC[0+0*VW+11*TT0I] = rC[2+0*VW+11*TT0I]
// src=179, dst=177
// 6, 0, 11, 1, 177, 179
// src=180, dst=178
// 6, 0, 11, 2, 178, 180
v_mov_b32 v89, v90                                 // rC[2+0*VW+11*TT0I] = rC[4+0*VW+11*TT0I]
// src=181, dst=179
// 6, 0, 11, 3, 179, 181
// src=182, dst=180
// 6, 0, 11, 4, 180, 182
v_mov_b32 v90, v91                                 // rC[4+0*VW+11*TT0I] = rC[6+0*VW+11*TT0I]
// src=183, dst=181
// 6, 0, 11, 5, 181, 183
// src=194, dst=192
// 6, 0, 12, 0, 192, 194
v_mov_b32 v96, v97                                 // rC[0+0*VW+12*TT0I] = rC[2+0*VW+12*TT0I]
// src=195, dst=193
// 6, 0, 12, 1, 193, 195
// src=196, dst=194
// 6, 0, 12, 2, 194, 196
v_mov_b32 v97, v98                                 // rC[2+0*VW+12*TT0I] = rC[4+0*VW+12*TT0I]
// src=197, dst=195
// 6, 0, 12, 3, 195, 197
// src=198, dst=196
// 6, 0, 12, 4, 196, 198
v_mov_b32 v98, v99                                 // rC[4+0*VW+12*TT0I] = rC[6+0*VW+12*TT0I]
// src=199, dst=197
// 6, 0, 12, 5, 197, 199
// src=210, dst=208
// 6, 0, 13, 0, 208, 210
v_mov_b32 v104, v105                               // rC[0+0*VW+13*TT0I] = rC[2+0*VW+13*TT0I]
// src=211, dst=209
// 6, 0, 13, 1, 209, 211
// src=212, dst=210
// 6, 0, 13, 2, 210, 212
v_mov_b32 v105, v106                               // rC[2+0*VW+13*TT0I] = rC[4+0*VW+13*TT0I]
	;; [unrolled: 5-line block ×9, first 2 shown]
// src=247, dst=245
// 6, 0, 15, 5, 245, 247
s_mov_b64 s[10:11], 0xFFFFFFFFFFFFFFFF             // to restore all threads active
s_or_saveexec_b64 vcc, s[10:11]                    // all threads active
s_branch label_0036                                // done shifting

/* shift d0 r=6 v=1 */
label_0032:
_v_cmpx_eq_u32 s[10:11], v132, v131                // serial % SG == (wgMT/VECTOR_WIDTH)%SG
// src=10, dst=8
// 6, 1, 0, 0, 8, 10
v_mov_b32 v4, v5                                   // rC[0+1*VW+0*TT0I] = rC[2+1*VW+0*TT0I]
// src=11, dst=9
// 6, 1, 0, 1, 9, 11
// src=12, dst=10
// 6, 1, 0, 2, 10, 12
v_mov_b32 v5, v6                                   // rC[2+1*VW+0*TT0I] = rC[4+1*VW+0*TT0I]
// src=13, dst=11
// 6, 1, 0, 3, 11, 13
	;; [unrolled: 5-line block ×3, first 2 shown]
// src=26, dst=24
// 6, 1, 1, 0, 24, 26
v_mov_b32 v12, v13                                 // rC[0+1*VW+1*TT0I] = rC[2+1*VW+1*TT0I]
// src=27, dst=25
// 6, 1, 1, 1, 25, 27
// src=28, dst=26
// 6, 1, 1, 2, 26, 28
v_mov_b32 v13, v14                                 // rC[2+1*VW+1*TT0I] = rC[4+1*VW+1*TT0I]
// src=29, dst=27
// 6, 1, 1, 3, 27, 29
	;; [unrolled: 5-line block ×33, first 2 shown]
// src=202, dst=200
// 6, 1, 12, 0, 200, 202
v_mov_b32 v100, v101                               // rC[0+1*VW+12*TT0I] = rC[2+1*VW+12*TT0I]
// src=203, dst=201
// 6, 1, 12, 1, 201, 203
// src=204, dst=202
// 6, 1, 12, 2, 202, 204
v_mov_b32 v101, v102                               // rC[2+1*VW+12*TT0I] = rC[4+1*VW+12*TT0I]
// src=205, dst=203
// 6, 1, 12, 3, 203, 205
	;; [unrolled: 5-line block ×12, first 2 shown]
s_mov_b64 s[10:11], 0xFFFFFFFFFFFFFFFF             // to restore all threads active
s_or_saveexec_b64 vcc, s[10:11]                    // all threads active
s_branch label_0036                                // done shifting

/******************************************/
/* shift d0 r=7                           */
/******************************************/
label_0033:
v_cmp_eq_u32 vcc, v134, 0x0                        // wgMT/(SG*VW) == 0
s_cbranch_vccnz label_0034                         // shift d0, r=7, v=0
v_cmp_eq_u32 vcc, v134, 0x1                        // wgMT/(SG*VW) == 1
s_cbranch_vccnz label_0035                         // shift d0, r=7, v=1

/* shift d0 r=7 v=0 */
label_0034:
_v_cmpx_eq_u32 s[10:11], v132, v131                // serial % SG == (wgMT/VECTOR_WIDTH)%SG
// src=1, dst=0
// 7, 0, 0, 0, 0, 1
// srcLo=0, dstLo=1
v_lshrrev_b32 v0, 0x10, v0                         // hi16 -> lo16
// src=2, dst=1
// 7, 0, 0, 1, 1, 2
// srcLo=1, dstLo=0
v_and_b32 v0, 0x0000FFFF, v0                       // zero out dst hi16
v_lshlrev_b32 v133, 0x10, v1                       // left shift src 16 bits
v_or_b32 v0, v133, v0                              // dst = tmpSrc | dst
// src=3, dst=2
// 7, 0, 0, 2, 2, 3
// srcLo=0, dstLo=1
v_lshrrev_b32 v1, 0x10, v1                         // hi16 -> lo16
// src=4, dst=3
// 7, 0, 0, 3, 3, 4
// srcLo=1, dstLo=0
v_and_b32 v1, 0x0000FFFF, v1                       // zero out dst hi16
v_lshlrev_b32 v133, 0x10, v2                       // left shift src 16 bits
v_or_b32 v1, v133, v1                              // dst = tmpSrc | dst
	;; [unrolled: 10-line block ×3, first 2 shown]
// src=7, dst=6
// 7, 0, 0, 6, 6, 7
// srcLo=0, dstLo=1
v_lshrrev_b32 v3, 0x10, v3                         // hi16 -> lo16
// src=17, dst=16
// 7, 0, 1, 0, 16, 17
// srcLo=0, dstLo=1
v_lshrrev_b32 v8, 0x10, v8                         // hi16 -> lo16
// src=18, dst=17
// 7, 0, 1, 1, 17, 18
// srcLo=1, dstLo=0
v_and_b32 v8, 0x0000FFFF, v8                       // zero out dst hi16
v_lshlrev_b32 v133, 0x10, v9                       // left shift src 16 bits
v_or_b32 v8, v133, v8                              // dst = tmpSrc | dst
// src=19, dst=18
// 7, 0, 1, 2, 18, 19
// srcLo=0, dstLo=1
v_lshrrev_b32 v9, 0x10, v9                         // hi16 -> lo16
// src=20, dst=19
// 7, 0, 1, 3, 19, 20
// srcLo=1, dstLo=0
v_and_b32 v9, 0x0000FFFF, v9                       // zero out dst hi16
v_lshlrev_b32 v133, 0x10, v10                      // left shift src 16 bits
v_or_b32 v9, v133, v9                              // dst = tmpSrc | dst
// src=21, dst=20
// 7, 0, 1, 4, 20, 21
// srcLo=0, dstLo=1
v_lshrrev_b32 v10, 0x10, v10                       // hi16 -> lo16
// src=22, dst=21
// 7, 0, 1, 5, 21, 22
// srcLo=1, dstLo=0
v_and_b32 v10, 0x0000FFFF, v10                     // zero out dst hi16
v_lshlrev_b32 v133, 0x10, v11                      // left shift src 16 bits
v_or_b32 v10, v133, v10                            // dst = tmpSrc | dst
// src=23, dst=22
// 7, 0, 1, 6, 22, 23
// srcLo=0, dstLo=1
v_lshrrev_b32 v11, 0x10, v11                       // hi16 -> lo16
// src=33, dst=32
// 7, 0, 2, 0, 32, 33
// srcLo=0, dstLo=1
v_lshrrev_b32 v16, 0x10, v16                       // hi16 -> lo16
// src=34, dst=33
// 7, 0, 2, 1, 33, 34
// srcLo=1, dstLo=0
v_and_b32 v16, 0x0000FFFF, v16                     // zero out dst hi16
v_lshlrev_b32 v133, 0x10, v17                      // left shift src 16 bits
v_or_b32 v16, v133, v16                            // dst = tmpSrc | dst
// src=35, dst=34
// 7, 0, 2, 2, 34, 35
// srcLo=0, dstLo=1
v_lshrrev_b32 v17, 0x10, v17                       // hi16 -> lo16
// src=36, dst=35
// 7, 0, 2, 3, 35, 36
// srcLo=1, dstLo=0
v_and_b32 v17, 0x0000FFFF, v17                     // zero out dst hi16
v_lshlrev_b32 v133, 0x10, v18                      // left shift src 16 bits
v_or_b32 v17, v133, v17                            // dst = tmpSrc | dst
// src=37, dst=36
// 7, 0, 2, 4, 36, 37
// srcLo=0, dstLo=1
v_lshrrev_b32 v18, 0x10, v18                       // hi16 -> lo16
// src=38, dst=37
// 7, 0, 2, 5, 37, 38
// srcLo=1, dstLo=0
v_and_b32 v18, 0x0000FFFF, v18                     // zero out dst hi16
v_lshlrev_b32 v133, 0x10, v19                      // left shift src 16 bits
v_or_b32 v18, v133, v18                            // dst = tmpSrc | dst
// src=39, dst=38
// 7, 0, 2, 6, 38, 39
// srcLo=0, dstLo=1
v_lshrrev_b32 v19, 0x10, v19                       // hi16 -> lo16
// src=49, dst=48
// 7, 0, 3, 0, 48, 49
// srcLo=0, dstLo=1
v_lshrrev_b32 v24, 0x10, v24                       // hi16 -> lo16
// src=50, dst=49
// 7, 0, 3, 1, 49, 50
// srcLo=1, dstLo=0
v_and_b32 v24, 0x0000FFFF, v24                     // zero out dst hi16
v_lshlrev_b32 v133, 0x10, v25                      // left shift src 16 bits
v_or_b32 v24, v133, v24                            // dst = tmpSrc | dst
// src=51, dst=50
// 7, 0, 3, 2, 50, 51
// srcLo=0, dstLo=1
v_lshrrev_b32 v25, 0x10, v25                       // hi16 -> lo16
// src=52, dst=51
// 7, 0, 3, 3, 51, 52
// srcLo=1, dstLo=0
v_and_b32 v25, 0x0000FFFF, v25                     // zero out dst hi16
v_lshlrev_b32 v133, 0x10, v26                      // left shift src 16 bits
v_or_b32 v25, v133, v25                            // dst = tmpSrc | dst
	;; [unrolled: 34-line block ×11, first 2 shown]
// src=197, dst=196
// 7, 0, 12, 4, 196, 197
// srcLo=0, dstLo=1
v_lshrrev_b32 v98, 0x10, v98                       // hi16 -> lo16
// src=198, dst=197
// 7, 0, 12, 5, 197, 198
// srcLo=1, dstLo=0
v_and_b32 v98, 0x0000FFFF, v98                     // zero out dst hi16
v_lshlrev_b32 v133, 0x10, v99                      // left shift src 16 bits
v_or_b32 v98, v133, v98                            // dst = tmpSrc | dst
// src=199, dst=198
// 7, 0, 12, 6, 198, 199
// srcLo=0, dstLo=1
v_lshrrev_b32 v99, 0x10, v99                       // hi16 -> lo16
// src=209, dst=208
// 7, 0, 13, 0, 208, 209
// srcLo=0, dstLo=1
v_lshrrev_b32 v104, 0x10, v104                     // hi16 -> lo16
// src=210, dst=209
// 7, 0, 13, 1, 209, 210
// srcLo=1, dstLo=0
v_and_b32 v104, 0x0000FFFF, v104                   // zero out dst hi16
v_lshlrev_b32 v133, 0x10, v105                     // left shift src 16 bits
v_or_b32 v104, v133, v104                          // dst = tmpSrc | dst
// src=211, dst=210
// 7, 0, 13, 2, 210, 211
// srcLo=0, dstLo=1
v_lshrrev_b32 v105, 0x10, v105                     // hi16 -> lo16
// src=212, dst=211
// 7, 0, 13, 3, 211, 212
// srcLo=1, dstLo=0
v_and_b32 v105, 0x0000FFFF, v105                   // zero out dst hi16
v_lshlrev_b32 v133, 0x10, v106                     // left shift src 16 bits
v_or_b32 v105, v133, v105                          // dst = tmpSrc | dst
// src=213, dst=212
// 7, 0, 13, 4, 212, 213
// srcLo=0, dstLo=1
v_lshrrev_b32 v106, 0x10, v106                     // hi16 -> lo16
// src=214, dst=213
// 7, 0, 13, 5, 213, 214
// srcLo=1, dstLo=0
v_and_b32 v106, 0x0000FFFF, v106                   // zero out dst hi16
v_lshlrev_b32 v133, 0x10, v107                     // left shift src 16 bits
v_or_b32 v106, v133, v106                          // dst = tmpSrc | dst
// src=215, dst=214
// 7, 0, 13, 6, 214, 215
// srcLo=0, dstLo=1
v_lshrrev_b32 v107, 0x10, v107                     // hi16 -> lo16
// src=225, dst=224
// 7, 0, 14, 0, 224, 225
// srcLo=0, dstLo=1
v_lshrrev_b32 v112, 0x10, v112                     // hi16 -> lo16
// src=226, dst=225
// 7, 0, 14, 1, 225, 226
// srcLo=1, dstLo=0
v_and_b32 v112, 0x0000FFFF, v112                   // zero out dst hi16
v_lshlrev_b32 v133, 0x10, v113                     // left shift src 16 bits
v_or_b32 v112, v133, v112                          // dst = tmpSrc | dst
// src=227, dst=226
// 7, 0, 14, 2, 226, 227
// srcLo=0, dstLo=1
v_lshrrev_b32 v113, 0x10, v113                     // hi16 -> lo16
// src=228, dst=227
// 7, 0, 14, 3, 227, 228
// srcLo=1, dstLo=0
v_and_b32 v113, 0x0000FFFF, v113                   // zero out dst hi16
v_lshlrev_b32 v133, 0x10, v114                     // left shift src 16 bits
v_or_b32 v113, v133, v113                          // dst = tmpSrc | dst
// src=229, dst=228
// 7, 0, 14, 4, 228, 229
// srcLo=0, dstLo=1
v_lshrrev_b32 v114, 0x10, v114                     // hi16 -> lo16
// src=230, dst=229
// 7, 0, 14, 5, 229, 230
// srcLo=1, dstLo=0
v_and_b32 v114, 0x0000FFFF, v114                   // zero out dst hi16
v_lshlrev_b32 v133, 0x10, v115                     // left shift src 16 bits
v_or_b32 v114, v133, v114                          // dst = tmpSrc | dst
// src=231, dst=230
// 7, 0, 14, 6, 230, 231
// srcLo=0, dstLo=1
v_lshrrev_b32 v115, 0x10, v115                     // hi16 -> lo16
	;; [unrolled: 34-line block ×3, first 2 shown]
s_mov_b64 s[10:11], 0xFFFFFFFFFFFFFFFF             // to restore all threads active
s_or_saveexec_b64 vcc, s[10:11]                    // all threads active
s_branch label_0036                                // done shifting

/* shift d0 r=7 v=1 */
label_0035:
_v_cmpx_eq_u32 s[10:11], v132, v131                // serial % SG == (wgMT/VECTOR_WIDTH)%SG
// src=9, dst=8
// 7, 1, 0, 0, 8, 9
// srcLo=0, dstLo=1
v_lshrrev_b32 v4, 0x10, v4                         // hi16 -> lo16
// src=10, dst=9
// 7, 1, 0, 1, 9, 10
// srcLo=1, dstLo=0
v_and_b32 v4, 0x0000FFFF, v4                       // zero out dst hi16
v_lshlrev_b32 v133, 0x10, v5                       // left shift src 16 bits
v_or_b32 v4, v133, v4                              // dst = tmpSrc | dst
// src=11, dst=10
// 7, 1, 0, 2, 10, 11
// srcLo=0, dstLo=1
v_lshrrev_b32 v5, 0x10, v5                         // hi16 -> lo16
// src=12, dst=11
// 7, 1, 0, 3, 11, 12
// srcLo=1, dstLo=0
v_and_b32 v5, 0x0000FFFF, v5                       // zero out dst hi16
v_lshlrev_b32 v133, 0x10, v6                       // left shift src 16 bits
v_or_b32 v5, v133, v5                              // dst = tmpSrc | dst
	;; [unrolled: 10-line block ×3, first 2 shown]
// src=15, dst=14
// 7, 1, 0, 6, 14, 15
// srcLo=0, dstLo=1
v_lshrrev_b32 v7, 0x10, v7                         // hi16 -> lo16
// src=25, dst=24
// 7, 1, 1, 0, 24, 25
// srcLo=0, dstLo=1
v_lshrrev_b32 v12, 0x10, v12                       // hi16 -> lo16
// src=26, dst=25
// 7, 1, 1, 1, 25, 26
// srcLo=1, dstLo=0
v_and_b32 v12, 0x0000FFFF, v12                     // zero out dst hi16
v_lshlrev_b32 v133, 0x10, v13                      // left shift src 16 bits
v_or_b32 v12, v133, v12                            // dst = tmpSrc | dst
// src=27, dst=26
// 7, 1, 1, 2, 26, 27
// srcLo=0, dstLo=1
v_lshrrev_b32 v13, 0x10, v13                       // hi16 -> lo16
// src=28, dst=27
// 7, 1, 1, 3, 27, 28
// srcLo=1, dstLo=0
v_and_b32 v13, 0x0000FFFF, v13                     // zero out dst hi16
v_lshlrev_b32 v133, 0x10, v14                      // left shift src 16 bits
v_or_b32 v13, v133, v13                            // dst = tmpSrc | dst
// src=29, dst=28
// 7, 1, 1, 4, 28, 29
// srcLo=0, dstLo=1
v_lshrrev_b32 v14, 0x10, v14                       // hi16 -> lo16
// src=30, dst=29
// 7, 1, 1, 5, 29, 30
// srcLo=1, dstLo=0
v_and_b32 v14, 0x0000FFFF, v14                     // zero out dst hi16
v_lshlrev_b32 v133, 0x10, v15                      // left shift src 16 bits
v_or_b32 v14, v133, v14                            // dst = tmpSrc | dst
// src=31, dst=30
// 7, 1, 1, 6, 30, 31
// srcLo=0, dstLo=1
v_lshrrev_b32 v15, 0x10, v15                       // hi16 -> lo16
// src=41, dst=40
// 7, 1, 2, 0, 40, 41
// srcLo=0, dstLo=1
v_lshrrev_b32 v20, 0x10, v20                       // hi16 -> lo16
// src=42, dst=41
// 7, 1, 2, 1, 41, 42
// srcLo=1, dstLo=0
v_and_b32 v20, 0x0000FFFF, v20                     // zero out dst hi16
v_lshlrev_b32 v133, 0x10, v21                      // left shift src 16 bits
v_or_b32 v20, v133, v20                            // dst = tmpSrc | dst
// src=43, dst=42
// 7, 1, 2, 2, 42, 43
// srcLo=0, dstLo=1
v_lshrrev_b32 v21, 0x10, v21                       // hi16 -> lo16
// src=44, dst=43
// 7, 1, 2, 3, 43, 44
// srcLo=1, dstLo=0
v_and_b32 v21, 0x0000FFFF, v21                     // zero out dst hi16
v_lshlrev_b32 v133, 0x10, v22                      // left shift src 16 bits
v_or_b32 v21, v133, v21                            // dst = tmpSrc | dst
// src=45, dst=44
// 7, 1, 2, 4, 44, 45
// srcLo=0, dstLo=1
v_lshrrev_b32 v22, 0x10, v22                       // hi16 -> lo16
// src=46, dst=45
// 7, 1, 2, 5, 45, 46
// srcLo=1, dstLo=0
v_and_b32 v22, 0x0000FFFF, v22                     // zero out dst hi16
v_lshlrev_b32 v133, 0x10, v23                      // left shift src 16 bits
v_or_b32 v22, v133, v22                            // dst = tmpSrc | dst
// src=47, dst=46
// 7, 1, 2, 6, 46, 47
// srcLo=0, dstLo=1
v_lshrrev_b32 v23, 0x10, v23                       // hi16 -> lo16
	;; [unrolled: 34-line block ×11, first 2 shown]
// src=201, dst=200
// 7, 1, 12, 0, 200, 201
// srcLo=0, dstLo=1
v_lshrrev_b32 v100, 0x10, v100                     // hi16 -> lo16
// src=202, dst=201
// 7, 1, 12, 1, 201, 202
// srcLo=1, dstLo=0
v_and_b32 v100, 0x0000FFFF, v100                   // zero out dst hi16
v_lshlrev_b32 v133, 0x10, v101                     // left shift src 16 bits
v_or_b32 v100, v133, v100                          // dst = tmpSrc | dst
// src=203, dst=202
// 7, 1, 12, 2, 202, 203
// srcLo=0, dstLo=1
v_lshrrev_b32 v101, 0x10, v101                     // hi16 -> lo16
// src=204, dst=203
// 7, 1, 12, 3, 203, 204
// srcLo=1, dstLo=0
v_and_b32 v101, 0x0000FFFF, v101                   // zero out dst hi16
v_lshlrev_b32 v133, 0x10, v102                     // left shift src 16 bits
v_or_b32 v101, v133, v101                          // dst = tmpSrc | dst
// src=205, dst=204
// 7, 1, 12, 4, 204, 205
// srcLo=0, dstLo=1
v_lshrrev_b32 v102, 0x10, v102                     // hi16 -> lo16
// src=206, dst=205
// 7, 1, 12, 5, 205, 206
// srcLo=1, dstLo=0
v_and_b32 v102, 0x0000FFFF, v102                   // zero out dst hi16
v_lshlrev_b32 v133, 0x10, v103                     // left shift src 16 bits
v_or_b32 v102, v133, v102                          // dst = tmpSrc | dst
// src=207, dst=206
// 7, 1, 12, 6, 206, 207
// srcLo=0, dstLo=1
v_lshrrev_b32 v103, 0x10, v103                     // hi16 -> lo16
// src=217, dst=216
// 7, 1, 13, 0, 216, 217
// srcLo=0, dstLo=1
v_lshrrev_b32 v108, 0x10, v108                     // hi16 -> lo16
// src=218, dst=217
// 7, 1, 13, 1, 217, 218
// srcLo=1, dstLo=0
v_and_b32 v108, 0x0000FFFF, v108                   // zero out dst hi16
v_lshlrev_b32 v133, 0x10, v109                     // left shift src 16 bits
v_or_b32 v108, v133, v108                          // dst = tmpSrc | dst
// src=219, dst=218
// 7, 1, 13, 2, 218, 219
// srcLo=0, dstLo=1
v_lshrrev_b32 v109, 0x10, v109                     // hi16 -> lo16
// src=220, dst=219
// 7, 1, 13, 3, 219, 220
// srcLo=1, dstLo=0
v_and_b32 v109, 0x0000FFFF, v109                   // zero out dst hi16
v_lshlrev_b32 v133, 0x10, v110                     // left shift src 16 bits
v_or_b32 v109, v133, v109                          // dst = tmpSrc | dst
// src=221, dst=220
// 7, 1, 13, 4, 220, 221
// srcLo=0, dstLo=1
v_lshrrev_b32 v110, 0x10, v110                     // hi16 -> lo16
// src=222, dst=221
// 7, 1, 13, 5, 221, 222
// srcLo=1, dstLo=0
v_and_b32 v110, 0x0000FFFF, v110                   // zero out dst hi16
v_lshlrev_b32 v133, 0x10, v111                     // left shift src 16 bits
v_or_b32 v110, v133, v110                          // dst = tmpSrc | dst
// src=223, dst=222
// 7, 1, 13, 6, 222, 223
// srcLo=0, dstLo=1
v_lshrrev_b32 v111, 0x10, v111                     // hi16 -> lo16
	;; [unrolled: 34-line block ×4, first 2 shown]
s_mov_b64 s[10:11], 0xFFFFFFFFFFFFFFFF             // to restore all threads active
s_or_saveexec_b64 vcc, s[10:11]                    // all threads active
s_branch label_0036                                // done shifting
label_0036: // end shift0


/* shift vector components d1 */

v_mov_b32 v129, s[sgprWorkGroup1]                  // 
v_mul_i32_i24 v129, -0x100, v129                   // wg*MT
_v_add_co_u32 v129, vcc, s[sgprSizesFree+1], v129  // wgMT = Size - wg*MT
v_mov_b32 v128, 0x100                              // MT
v_min_u32 v129, v128, v129                         // wgMT = (wgMT < MT) ? wgMT : MT
v_lshrrev_b32 v128, 2, v129                        // v128 = v129 / 4
v_and_b32 v130, 7, v129                            // v130 = v129 % 8
v_and_b32 v131, 15, v128                           // v131 = v128 % 16
v_lshrrev_b32 v132, 4, v[vgprSerial]               // v132 = v[vgprSerial] / 16
v_and_b32 v133, 15, v132                           // v133 = v132 % 16
v_lshrrev_b32 v132, 6, v129                        // v132 = v129 / 64
v_and_b32 v134, 3, v129                            // v134 = v129 % 4
v_mov_b32 v135, v134                               // duplicate
v_lshrrev_b32 v134, 3, v135                        // v134 = v135 / 8
_v_add_co_u32 v134, vcc, v132, v134                // vId = 2 components
v_cmp_eq_u32 vcc, v130, 0x1                        // wgMT%VW == 1
s_cbranch_vccnz label_0039                         // shift d1 r=1
v_cmp_eq_u32 vcc, v130, 0x2                        // wgMT%VW == 2
s_cbranch_vccnz label_0042                         // shift d1 r=2
v_cmp_eq_u32 vcc, v130, 0x3                        // wgMT%VW == 3
s_cbranch_vccnz label_0045                         // shift d1 r=3
v_cmp_eq_u32 vcc, v130, 0x4                        // wgMT%VW == 4
s_cbranch_vccnz label_0048                         // shift d1 r=4
v_cmp_eq_u32 vcc, v130, 0x5                        // wgMT%VW == 5
s_cbranch_vccnz label_0051                         // shift d1 r=5
v_cmp_eq_u32 vcc, v130, 0x6                        // wgMT%VW == 6
s_cbranch_vccnz label_0054                         // shift d1 r=6
v_cmp_eq_u32 vcc, v130, 0x7                        // wgMT%VW == 7
s_cbranch_vccnz label_0057                         // shift d1 r=7
s_branch label_0060                                // no shifting

/******************************************/
/* shift d1 r=1                           */
/******************************************/
label_0039:
v_cmp_eq_u32 vcc, v134, 0x0                        // wgMT/(SG*VW) == 0
s_cbranch_vccnz label_0040                         // shift d1, r=1, v=0
v_cmp_eq_u32 vcc, v134, 0x1                        // wgMT/(SG*VW) == 1
s_cbranch_vccnz label_0041                         // shift d1, r=1, v=1

/* shift d1 r=1 v=0 */
label_0040:
_v_cmpx_eq_u32 s[10:11], v133, v131                // serial % SG == (wgMT/VECTOR_WIDTH)%SG
// src=112, dst=0
// 1, 0, 0, 0, 0, 112
v_mov_b32 v0, v56                                  // rC[0+0*TT0I*VW+0*TT0I] = rC[0+0*TT0I*VW+7*TT0I]
// src=113, dst=1
// 1, 0, 1, 0, 1, 113
// src=114, dst=2
// 1, 0, 2, 0, 2, 114
v_mov_b32 v1, v57                                  // rC[2+0*TT0I*VW+0*TT0I] = rC[2+0*TT0I*VW+7*TT0I]
// src=115, dst=3
// 1, 0, 3, 0, 3, 115
	;; [unrolled: 5-line block ×8, first 2 shown]
s_mov_b64 s[10:11], 0xFFFFFFFFFFFFFFFF             // to restore all threads active
s_or_saveexec_b64 vcc, s[10:11]                    // all threads active
s_branch label_0060                                // done shifting

/* shift d1 r=1 v=1 */
label_0041:
_v_cmpx_eq_u32 s[10:11], v133, v131                // serial % SG == (wgMT/VECTOR_WIDTH)%SG
// src=240, dst=128
// 1, 1, 0, 0, 128, 240
v_mov_b32 v64, v120                                // rC[0+1*TT0I*VW+0*TT0I] = rC[0+1*TT0I*VW+7*TT0I]
// src=241, dst=129
// 1, 1, 1, 0, 129, 241
// src=242, dst=130
// 1, 1, 2, 0, 130, 242
v_mov_b32 v65, v121                                // rC[2+1*TT0I*VW+0*TT0I] = rC[2+1*TT0I*VW+7*TT0I]
// src=243, dst=131
// 1, 1, 3, 0, 131, 243
	;; [unrolled: 5-line block ×8, first 2 shown]
s_mov_b64 s[10:11], 0xFFFFFFFFFFFFFFFF             // to restore all threads active
s_or_saveexec_b64 vcc, s[10:11]                    // all threads active
s_branch label_0060                                // done shifting

/******************************************/
/* shift d1 r=2                           */
/******************************************/
label_0042:
v_cmp_eq_u32 vcc, v134, 0x0                        // wgMT/(SG*VW) == 0
s_cbranch_vccnz label_0043                         // shift d1, r=2, v=0
v_cmp_eq_u32 vcc, v134, 0x1                        // wgMT/(SG*VW) == 1
s_cbranch_vccnz label_0044                         // shift d1, r=2, v=1

/* shift d1 r=2 v=0 */
label_0043:
_v_cmpx_eq_u32 s[10:11], v133, v131                // serial % SG == (wgMT/VECTOR_WIDTH)%SG
// src=96, dst=0
// 2, 0, 0, 0, 0, 96
v_mov_b32 v0, v48                                  // rC[0+0*TT0I*VW+0*TT0I] = rC[0+0*TT0I*VW+6*TT0I]
// src=112, dst=16
// 2, 0, 0, 1, 16, 112
v_mov_b32 v8, v56                                  // rC[0+0*TT0I*VW+1*TT0I] = rC[0+0*TT0I*VW+7*TT0I]
// src=97, dst=1
// 2, 0, 1, 0, 1, 97
// src=113, dst=17
// 2, 0, 1, 1, 17, 113
	;; [unrolled: 2-line block ×3, first 2 shown]
v_mov_b32 v1, v49                                  // rC[2+0*TT0I*VW+0*TT0I] = rC[2+0*TT0I*VW+6*TT0I]
// src=114, dst=18
// 2, 0, 2, 1, 18, 114
v_mov_b32 v9, v57                                  // rC[2+0*TT0I*VW+1*TT0I] = rC[2+0*TT0I*VW+7*TT0I]
// src=99, dst=3
// 2, 0, 3, 0, 3, 99
// src=115, dst=19
// 2, 0, 3, 1, 19, 115
// src=100, dst=4
// 2, 0, 4, 0, 4, 100
v_mov_b32 v2, v50                                  // rC[4+0*TT0I*VW+0*TT0I] = rC[4+0*TT0I*VW+6*TT0I]
// src=116, dst=20
// 2, 0, 4, 1, 20, 116
v_mov_b32 v10, v58                                 // rC[4+0*TT0I*VW+1*TT0I] = rC[4+0*TT0I*VW+7*TT0I]
// src=101, dst=5
// 2, 0, 5, 0, 5, 101
// src=117, dst=21
// 2, 0, 5, 1, 21, 117
// src=102, dst=6
// 2, 0, 6, 0, 6, 102
v_mov_b32 v3, v51                                  // rC[6+0*TT0I*VW+0*TT0I] = rC[6+0*TT0I*VW+6*TT0I]
// src=118, dst=22
// 2, 0, 6, 1, 22, 118
v_mov_b32 v11, v59                                 // rC[6+0*TT0I*VW+1*TT0I] = rC[6+0*TT0I*VW+7*TT0I]
	;; [unrolled: 10-line block ×6, first 2 shown]
// src=111, dst=15
// 2, 0, 15, 0, 15, 111
// src=127, dst=31
// 2, 0, 15, 1, 31, 127
s_mov_b64 s[10:11], 0xFFFFFFFFFFFFFFFF             // to restore all threads active
s_or_saveexec_b64 vcc, s[10:11]                    // all threads active
s_branch label_0060                                // done shifting

/* shift d1 r=2 v=1 */
label_0044:
_v_cmpx_eq_u32 s[10:11], v133, v131                // serial % SG == (wgMT/VECTOR_WIDTH)%SG
// src=224, dst=128
// 2, 1, 0, 0, 128, 224
v_mov_b32 v64, v112                                // rC[0+1*TT0I*VW+0*TT0I] = rC[0+1*TT0I*VW+6*TT0I]
// src=240, dst=144
// 2, 1, 0, 1, 144, 240
v_mov_b32 v72, v120                                // rC[0+1*TT0I*VW+1*TT0I] = rC[0+1*TT0I*VW+7*TT0I]
// src=225, dst=129
// 2, 1, 1, 0, 129, 225
// src=241, dst=145
// 2, 1, 1, 1, 145, 241
// src=226, dst=130
// 2, 1, 2, 0, 130, 226
v_mov_b32 v65, v113                                // rC[2+1*TT0I*VW+0*TT0I] = rC[2+1*TT0I*VW+6*TT0I]
// src=242, dst=146
// 2, 1, 2, 1, 146, 242
v_mov_b32 v73, v121                                // rC[2+1*TT0I*VW+1*TT0I] = rC[2+1*TT0I*VW+7*TT0I]
// src=227, dst=131
// 2, 1, 3, 0, 131, 227
// src=243, dst=147
// 2, 1, 3, 1, 147, 243
	;; [unrolled: 10-line block ×8, first 2 shown]
s_mov_b64 s[10:11], 0xFFFFFFFFFFFFFFFF             // to restore all threads active
s_or_saveexec_b64 vcc, s[10:11]                    // all threads active
s_branch label_0060                                // done shifting

/******************************************/
/* shift d1 r=3                           */
/******************************************/
label_0045:
v_cmp_eq_u32 vcc, v134, 0x0                        // wgMT/(SG*VW) == 0
s_cbranch_vccnz label_0046                         // shift d1, r=3, v=0
v_cmp_eq_u32 vcc, v134, 0x1                        // wgMT/(SG*VW) == 1
s_cbranch_vccnz label_0047                         // shift d1, r=3, v=1

/* shift d1 r=3 v=0 */
label_0046:
_v_cmpx_eq_u32 s[10:11], v133, v131                // serial % SG == (wgMT/VECTOR_WIDTH)%SG
// src=80, dst=0
// 3, 0, 0, 0, 0, 80
v_mov_b32 v0, v40                                  // rC[0+0*TT0I*VW+0*TT0I] = rC[0+0*TT0I*VW+5*TT0I]
// src=96, dst=16
// 3, 0, 0, 1, 16, 96
v_mov_b32 v8, v48                                  // rC[0+0*TT0I*VW+1*TT0I] = rC[0+0*TT0I*VW+6*TT0I]
// src=112, dst=32
// 3, 0, 0, 2, 32, 112
v_mov_b32 v16, v56                                 // rC[0+0*TT0I*VW+2*TT0I] = rC[0+0*TT0I*VW+7*TT0I]
// src=81, dst=1
// 3, 0, 1, 0, 1, 81
// src=97, dst=17
// 3, 0, 1, 1, 17, 97
	;; [unrolled: 2-line block ×4, first 2 shown]
v_mov_b32 v1, v41                                  // rC[2+0*TT0I*VW+0*TT0I] = rC[2+0*TT0I*VW+5*TT0I]
// src=98, dst=18
// 3, 0, 2, 1, 18, 98
v_mov_b32 v9, v49                                  // rC[2+0*TT0I*VW+1*TT0I] = rC[2+0*TT0I*VW+6*TT0I]
// src=114, dst=34
// 3, 0, 2, 2, 34, 114
v_mov_b32 v17, v57                                 // rC[2+0*TT0I*VW+2*TT0I] = rC[2+0*TT0I*VW+7*TT0I]
// src=83, dst=3
// 3, 0, 3, 0, 3, 83
// src=99, dst=19
// 3, 0, 3, 1, 19, 99
// src=115, dst=35
// 3, 0, 3, 2, 35, 115
// src=84, dst=4
// 3, 0, 4, 0, 4, 84
v_mov_b32 v2, v42                                  // rC[4+0*TT0I*VW+0*TT0I] = rC[4+0*TT0I*VW+5*TT0I]
// src=100, dst=20
// 3, 0, 4, 1, 20, 100
v_mov_b32 v10, v50                                 // rC[4+0*TT0I*VW+1*TT0I] = rC[4+0*TT0I*VW+6*TT0I]
// src=116, dst=36
// 3, 0, 4, 2, 36, 116
v_mov_b32 v18, v58                                 // rC[4+0*TT0I*VW+2*TT0I] = rC[4+0*TT0I*VW+7*TT0I]
// src=85, dst=5
// 3, 0, 5, 0, 5, 85
// src=101, dst=21
// 3, 0, 5, 1, 21, 101
// src=117, dst=37
// 3, 0, 5, 2, 37, 117
// src=86, dst=6
// 3, 0, 6, 0, 6, 86
v_mov_b32 v3, v43                                  // rC[6+0*TT0I*VW+0*TT0I] = rC[6+0*TT0I*VW+5*TT0I]
// src=102, dst=22
// 3, 0, 6, 1, 22, 102
v_mov_b32 v11, v51                                 // rC[6+0*TT0I*VW+1*TT0I] = rC[6+0*TT0I*VW+6*TT0I]
	;; [unrolled: 15-line block ×6, first 2 shown]
// src=126, dst=46
// 3, 0, 14, 2, 46, 126
v_mov_b32 v23, v63                                 // rC[14+0*TT0I*VW+2*TT0I] = rC[14+0*TT0I*VW+7*TT0I]
// src=95, dst=15
// 3, 0, 15, 0, 15, 95
// src=111, dst=31
// 3, 0, 15, 1, 31, 111
	;; [unrolled: 2-line block ×3, first 2 shown]
s_mov_b64 s[10:11], 0xFFFFFFFFFFFFFFFF             // to restore all threads active
s_or_saveexec_b64 vcc, s[10:11]                    // all threads active
s_branch label_0060                                // done shifting

/* shift d1 r=3 v=1 */
label_0047:
_v_cmpx_eq_u32 s[10:11], v133, v131                // serial % SG == (wgMT/VECTOR_WIDTH)%SG
// src=208, dst=128
// 3, 1, 0, 0, 128, 208
v_mov_b32 v64, v104                                // rC[0+1*TT0I*VW+0*TT0I] = rC[0+1*TT0I*VW+5*TT0I]
// src=224, dst=144
// 3, 1, 0, 1, 144, 224
v_mov_b32 v72, v112                                // rC[0+1*TT0I*VW+1*TT0I] = rC[0+1*TT0I*VW+6*TT0I]
// src=240, dst=160
// 3, 1, 0, 2, 160, 240
v_mov_b32 v80, v120                                // rC[0+1*TT0I*VW+2*TT0I] = rC[0+1*TT0I*VW+7*TT0I]
// src=209, dst=129
// 3, 1, 1, 0, 129, 209
// src=225, dst=145
// 3, 1, 1, 1, 145, 225
// src=241, dst=161
// 3, 1, 1, 2, 161, 241
// src=210, dst=130
// 3, 1, 2, 0, 130, 210
v_mov_b32 v65, v105                                // rC[2+1*TT0I*VW+0*TT0I] = rC[2+1*TT0I*VW+5*TT0I]
// src=226, dst=146
// 3, 1, 2, 1, 146, 226
v_mov_b32 v73, v113                                // rC[2+1*TT0I*VW+1*TT0I] = rC[2+1*TT0I*VW+6*TT0I]
// src=242, dst=162
// 3, 1, 2, 2, 162, 242
v_mov_b32 v81, v121                                // rC[2+1*TT0I*VW+2*TT0I] = rC[2+1*TT0I*VW+7*TT0I]
// src=211, dst=131
// 3, 1, 3, 0, 131, 211
// src=227, dst=147
// 3, 1, 3, 1, 147, 227
// src=243, dst=163
// 3, 1, 3, 2, 163, 243
// src=212, dst=132
// 3, 1, 4, 0, 132, 212
v_mov_b32 v66, v106                                // rC[4+1*TT0I*VW+0*TT0I] = rC[4+1*TT0I*VW+5*TT0I]
// src=228, dst=148
// 3, 1, 4, 1, 148, 228
v_mov_b32 v74, v114                                // rC[4+1*TT0I*VW+1*TT0I] = rC[4+1*TT0I*VW+6*TT0I]
// src=244, dst=164
// 3, 1, 4, 2, 164, 244
v_mov_b32 v82, v122                                // rC[4+1*TT0I*VW+2*TT0I] = rC[4+1*TT0I*VW+7*TT0I]
// src=213, dst=133
// 3, 1, 5, 0, 133, 213
// src=229, dst=149
// 3, 1, 5, 1, 149, 229
// src=245, dst=165
// 3, 1, 5, 2, 165, 245
// src=214, dst=134
// 3, 1, 6, 0, 134, 214
v_mov_b32 v67, v107                                // rC[6+1*TT0I*VW+0*TT0I] = rC[6+1*TT0I*VW+5*TT0I]
// src=230, dst=150
// 3, 1, 6, 1, 150, 230
v_mov_b32 v75, v115                                // rC[6+1*TT0I*VW+1*TT0I] = rC[6+1*TT0I*VW+6*TT0I]
// src=246, dst=166
// 3, 1, 6, 2, 166, 246
v_mov_b32 v83, v123                                // rC[6+1*TT0I*VW+2*TT0I] = rC[6+1*TT0I*VW+7*TT0I]
// src=215, dst=135
// 3, 1, 7, 0, 135, 215
// src=231, dst=151
// 3, 1, 7, 1, 151, 231
// src=247, dst=167
// 3, 1, 7, 2, 167, 247
// src=216, dst=136
// 3, 1, 8, 0, 136, 216
v_mov_b32 v68, v108                                // rC[8+1*TT0I*VW+0*TT0I] = rC[8+1*TT0I*VW+5*TT0I]
// src=232, dst=152
// 3, 1, 8, 1, 152, 232
v_mov_b32 v76, v116                                // rC[8+1*TT0I*VW+1*TT0I] = rC[8+1*TT0I*VW+6*TT0I]
// src=248, dst=168
// 3, 1, 8, 2, 168, 248
v_mov_b32 v84, v124                                // rC[8+1*TT0I*VW+2*TT0I] = rC[8+1*TT0I*VW+7*TT0I]
// src=217, dst=137
// 3, 1, 9, 0, 137, 217
// src=233, dst=153
// 3, 1, 9, 1, 153, 233
// src=249, dst=169
// 3, 1, 9, 2, 169, 249
// src=218, dst=138
// 3, 1, 10, 0, 138, 218
v_mov_b32 v69, v109                                // rC[10+1*TT0I*VW+0*TT0I] = rC[10+1*TT0I*VW+5*TT0I]
// src=234, dst=154
// 3, 1, 10, 1, 154, 234
v_mov_b32 v77, v117                                // rC[10+1*TT0I*VW+1*TT0I] = rC[10+1*TT0I*VW+6*TT0I]
// src=250, dst=170
// 3, 1, 10, 2, 170, 250
v_mov_b32 v85, v125                                // rC[10+1*TT0I*VW+2*TT0I] = rC[10+1*TT0I*VW+7*TT0I]
// src=219, dst=139
// 3, 1, 11, 0, 139, 219
// src=235, dst=155
// 3, 1, 11, 1, 155, 235
// src=251, dst=171
// 3, 1, 11, 2, 171, 251
// src=220, dst=140
// 3, 1, 12, 0, 140, 220
v_mov_b32 v70, v110                                // rC[12+1*TT0I*VW+0*TT0I] = rC[12+1*TT0I*VW+5*TT0I]
// src=236, dst=156
// 3, 1, 12, 1, 156, 236
v_mov_b32 v78, v118                                // rC[12+1*TT0I*VW+1*TT0I] = rC[12+1*TT0I*VW+6*TT0I]
// src=252, dst=172
// 3, 1, 12, 2, 172, 252
v_mov_b32 v86, v126                                // rC[12+1*TT0I*VW+2*TT0I] = rC[12+1*TT0I*VW+7*TT0I]
// src=221, dst=141
// 3, 1, 13, 0, 141, 221
// src=237, dst=157
// 3, 1, 13, 1, 157, 237
// src=253, dst=173
// 3, 1, 13, 2, 173, 253
// src=222, dst=142
// 3, 1, 14, 0, 142, 222
v_mov_b32 v71, v111                                // rC[14+1*TT0I*VW+0*TT0I] = rC[14+1*TT0I*VW+5*TT0I]
// src=238, dst=158
// 3, 1, 14, 1, 158, 238
v_mov_b32 v79, v119                                // rC[14+1*TT0I*VW+1*TT0I] = rC[14+1*TT0I*VW+6*TT0I]
// src=254, dst=174
// 3, 1, 14, 2, 174, 254
v_mov_b32 v87, v127                                // rC[14+1*TT0I*VW+2*TT0I] = rC[14+1*TT0I*VW+7*TT0I]
// src=223, dst=143
// 3, 1, 15, 0, 143, 223
// src=239, dst=159
// 3, 1, 15, 1, 159, 239
// src=255, dst=175
// 3, 1, 15, 2, 175, 255
s_mov_b64 s[10:11], 0xFFFFFFFFFFFFFFFF             // to restore all threads active
s_or_saveexec_b64 vcc, s[10:11]                    // all threads active
s_branch label_0060                                // done shifting

/******************************************/
/* shift d1 r=4                           */
/******************************************/
label_0048:
v_cmp_eq_u32 vcc, v134, 0x0                        // wgMT/(SG*VW) == 0
s_cbranch_vccnz label_0049                         // shift d1, r=4, v=0
v_cmp_eq_u32 vcc, v134, 0x1                        // wgMT/(SG*VW) == 1
s_cbranch_vccnz label_0050                         // shift d1, r=4, v=1

/* shift d1 r=4 v=0 */
label_0049:
_v_cmpx_eq_u32 s[10:11], v133, v131                // serial % SG == (wgMT/VECTOR_WIDTH)%SG
// src=64, dst=0
// 4, 0, 0, 0, 0, 64
v_mov_b32 v0, v32                                  // rC[0+0*TT0I*VW+0*TT0I] = rC[0+0*TT0I*VW+4*TT0I]
// src=80, dst=16
// 4, 0, 0, 1, 16, 80
v_mov_b32 v8, v40                                  // rC[0+0*TT0I*VW+1*TT0I] = rC[0+0*TT0I*VW+5*TT0I]
// src=96, dst=32
// 4, 0, 0, 2, 32, 96
v_mov_b32 v16, v48                                 // rC[0+0*TT0I*VW+2*TT0I] = rC[0+0*TT0I*VW+6*TT0I]
// src=112, dst=48
// 4, 0, 0, 3, 48, 112
v_mov_b32 v24, v56                                 // rC[0+0*TT0I*VW+3*TT0I] = rC[0+0*TT0I*VW+7*TT0I]
// src=65, dst=1
// 4, 0, 1, 0, 1, 65
// src=81, dst=17
// 4, 0, 1, 1, 17, 81
	;; [unrolled: 2-line block ×5, first 2 shown]
v_mov_b32 v1, v33                                  // rC[2+0*TT0I*VW+0*TT0I] = rC[2+0*TT0I*VW+4*TT0I]
// src=82, dst=18
// 4, 0, 2, 1, 18, 82
v_mov_b32 v9, v41                                  // rC[2+0*TT0I*VW+1*TT0I] = rC[2+0*TT0I*VW+5*TT0I]
// src=98, dst=34
// 4, 0, 2, 2, 34, 98
v_mov_b32 v17, v49                                 // rC[2+0*TT0I*VW+2*TT0I] = rC[2+0*TT0I*VW+6*TT0I]
// src=114, dst=50
// 4, 0, 2, 3, 50, 114
v_mov_b32 v25, v57                                 // rC[2+0*TT0I*VW+3*TT0I] = rC[2+0*TT0I*VW+7*TT0I]
// src=67, dst=3
// 4, 0, 3, 0, 3, 67
// src=83, dst=19
// 4, 0, 3, 1, 19, 83
// src=99, dst=35
// 4, 0, 3, 2, 35, 99
// src=115, dst=51
// 4, 0, 3, 3, 51, 115
// src=68, dst=4
// 4, 0, 4, 0, 4, 68
v_mov_b32 v2, v34                                  // rC[4+0*TT0I*VW+0*TT0I] = rC[4+0*TT0I*VW+4*TT0I]
// src=84, dst=20
// 4, 0, 4, 1, 20, 84
v_mov_b32 v10, v42                                 // rC[4+0*TT0I*VW+1*TT0I] = rC[4+0*TT0I*VW+5*TT0I]
// src=100, dst=36
// 4, 0, 4, 2, 36, 100
v_mov_b32 v18, v50                                 // rC[4+0*TT0I*VW+2*TT0I] = rC[4+0*TT0I*VW+6*TT0I]
// src=116, dst=52
// 4, 0, 4, 3, 52, 116
v_mov_b32 v26, v58                                 // rC[4+0*TT0I*VW+3*TT0I] = rC[4+0*TT0I*VW+7*TT0I]
// src=69, dst=5
// 4, 0, 5, 0, 5, 69
// src=85, dst=21
// 4, 0, 5, 1, 21, 85
// src=101, dst=37
// 4, 0, 5, 2, 37, 101
// src=117, dst=53
// 4, 0, 5, 3, 53, 117
// src=70, dst=6
// 4, 0, 6, 0, 6, 70
v_mov_b32 v3, v35                                  // rC[6+0*TT0I*VW+0*TT0I] = rC[6+0*TT0I*VW+4*TT0I]
// src=86, dst=22
// 4, 0, 6, 1, 22, 86
v_mov_b32 v11, v43                                 // rC[6+0*TT0I*VW+1*TT0I] = rC[6+0*TT0I*VW+5*TT0I]
	;; [unrolled: 20-line block ×6, first 2 shown]
// src=110, dst=46
// 4, 0, 14, 2, 46, 110
v_mov_b32 v23, v55                                 // rC[14+0*TT0I*VW+2*TT0I] = rC[14+0*TT0I*VW+6*TT0I]
// src=126, dst=62
// 4, 0, 14, 3, 62, 126
v_mov_b32 v31, v63                                 // rC[14+0*TT0I*VW+3*TT0I] = rC[14+0*TT0I*VW+7*TT0I]
// src=79, dst=15
// 4, 0, 15, 0, 15, 79
// src=95, dst=31
// 4, 0, 15, 1, 31, 95
	;; [unrolled: 2-line block ×4, first 2 shown]
s_mov_b64 s[10:11], 0xFFFFFFFFFFFFFFFF             // to restore all threads active
s_or_saveexec_b64 vcc, s[10:11]                    // all threads active
s_branch label_0060                                // done shifting

/* shift d1 r=4 v=1 */
label_0050:
_v_cmpx_eq_u32 s[10:11], v133, v131                // serial % SG == (wgMT/VECTOR_WIDTH)%SG
// src=192, dst=128
// 4, 1, 0, 0, 128, 192
v_mov_b32 v64, v96                                 // rC[0+1*TT0I*VW+0*TT0I] = rC[0+1*TT0I*VW+4*TT0I]
// src=208, dst=144
// 4, 1, 0, 1, 144, 208
v_mov_b32 v72, v104                                // rC[0+1*TT0I*VW+1*TT0I] = rC[0+1*TT0I*VW+5*TT0I]
// src=224, dst=160
// 4, 1, 0, 2, 160, 224
v_mov_b32 v80, v112                                // rC[0+1*TT0I*VW+2*TT0I] = rC[0+1*TT0I*VW+6*TT0I]
// src=240, dst=176
// 4, 1, 0, 3, 176, 240
v_mov_b32 v88, v120                                // rC[0+1*TT0I*VW+3*TT0I] = rC[0+1*TT0I*VW+7*TT0I]
// src=193, dst=129
// 4, 1, 1, 0, 129, 193
// src=209, dst=145
// 4, 1, 1, 1, 145, 209
// src=225, dst=161
// 4, 1, 1, 2, 161, 225
// src=241, dst=177
// 4, 1, 1, 3, 177, 241
// src=194, dst=130
// 4, 1, 2, 0, 130, 194
v_mov_b32 v65, v97                                 // rC[2+1*TT0I*VW+0*TT0I] = rC[2+1*TT0I*VW+4*TT0I]
// src=210, dst=146
// 4, 1, 2, 1, 146, 210
v_mov_b32 v73, v105                                // rC[2+1*TT0I*VW+1*TT0I] = rC[2+1*TT0I*VW+5*TT0I]
// src=226, dst=162
// 4, 1, 2, 2, 162, 226
v_mov_b32 v81, v113                                // rC[2+1*TT0I*VW+2*TT0I] = rC[2+1*TT0I*VW+6*TT0I]
// src=242, dst=178
// 4, 1, 2, 3, 178, 242
v_mov_b32 v89, v121                                // rC[2+1*TT0I*VW+3*TT0I] = rC[2+1*TT0I*VW+7*TT0I]
// src=195, dst=131
// 4, 1, 3, 0, 131, 195
// src=211, dst=147
// 4, 1, 3, 1, 147, 211
// src=227, dst=163
// 4, 1, 3, 2, 163, 227
// src=243, dst=179
// 4, 1, 3, 3, 179, 243
	;; [unrolled: 20-line block ×4, first 2 shown]
// src=200, dst=136
// 4, 1, 8, 0, 136, 200
v_mov_b32 v68, v100                                // rC[8+1*TT0I*VW+0*TT0I] = rC[8+1*TT0I*VW+4*TT0I]
// src=216, dst=152
// 4, 1, 8, 1, 152, 216
v_mov_b32 v76, v108                                // rC[8+1*TT0I*VW+1*TT0I] = rC[8+1*TT0I*VW+5*TT0I]
// src=232, dst=168
// 4, 1, 8, 2, 168, 232
v_mov_b32 v84, v116                                // rC[8+1*TT0I*VW+2*TT0I] = rC[8+1*TT0I*VW+6*TT0I]
// src=248, dst=184
// 4, 1, 8, 3, 184, 248
v_mov_b32 v92, v124                                // rC[8+1*TT0I*VW+3*TT0I] = rC[8+1*TT0I*VW+7*TT0I]
// src=201, dst=137
// 4, 1, 9, 0, 137, 201
// src=217, dst=153
// 4, 1, 9, 1, 153, 217
// src=233, dst=169
// 4, 1, 9, 2, 169, 233
// src=249, dst=185
// 4, 1, 9, 3, 185, 249
// src=202, dst=138
// 4, 1, 10, 0, 138, 202
v_mov_b32 v69, v101                                // rC[10+1*TT0I*VW+0*TT0I] = rC[10+1*TT0I*VW+4*TT0I]
// src=218, dst=154
// 4, 1, 10, 1, 154, 218
v_mov_b32 v77, v109                                // rC[10+1*TT0I*VW+1*TT0I] = rC[10+1*TT0I*VW+5*TT0I]
// src=234, dst=170
// 4, 1, 10, 2, 170, 234
v_mov_b32 v85, v117                                // rC[10+1*TT0I*VW+2*TT0I] = rC[10+1*TT0I*VW+6*TT0I]
// src=250, dst=186
// 4, 1, 10, 3, 186, 250
v_mov_b32 v93, v125                                // rC[10+1*TT0I*VW+3*TT0I] = rC[10+1*TT0I*VW+7*TT0I]
// src=203, dst=139
// 4, 1, 11, 0, 139, 203
// src=219, dst=155
// 4, 1, 11, 1, 155, 219
// src=235, dst=171
// 4, 1, 11, 2, 171, 235
// src=251, dst=187
// 4, 1, 11, 3, 187, 251
// src=204, dst=140
// 4, 1, 12, 0, 140, 204
v_mov_b32 v70, v102                                // rC[12+1*TT0I*VW+0*TT0I] = rC[12+1*TT0I*VW+4*TT0I]
// src=220, dst=156
// 4, 1, 12, 1, 156, 220
v_mov_b32 v78, v110                                // rC[12+1*TT0I*VW+1*TT0I] = rC[12+1*TT0I*VW+5*TT0I]
// src=236, dst=172
// 4, 1, 12, 2, 172, 236
v_mov_b32 v86, v118                                // rC[12+1*TT0I*VW+2*TT0I] = rC[12+1*TT0I*VW+6*TT0I]
// src=252, dst=188
// 4, 1, 12, 3, 188, 252
v_mov_b32 v94, v126                                // rC[12+1*TT0I*VW+3*TT0I] = rC[12+1*TT0I*VW+7*TT0I]
// src=205, dst=141
// 4, 1, 13, 0, 141, 205
// src=221, dst=157
// 4, 1, 13, 1, 157, 221
// src=237, dst=173
// 4, 1, 13, 2, 173, 237
// src=253, dst=189
// 4, 1, 13, 3, 189, 253
// src=206, dst=142
// 4, 1, 14, 0, 142, 206
v_mov_b32 v71, v103                                // rC[14+1*TT0I*VW+0*TT0I] = rC[14+1*TT0I*VW+4*TT0I]
// src=222, dst=158
// 4, 1, 14, 1, 158, 222
v_mov_b32 v79, v111                                // rC[14+1*TT0I*VW+1*TT0I] = rC[14+1*TT0I*VW+5*TT0I]
// src=238, dst=174
// 4, 1, 14, 2, 174, 238
v_mov_b32 v87, v119                                // rC[14+1*TT0I*VW+2*TT0I] = rC[14+1*TT0I*VW+6*TT0I]
// src=254, dst=190
// 4, 1, 14, 3, 190, 254
v_mov_b32 v95, v127                                // rC[14+1*TT0I*VW+3*TT0I] = rC[14+1*TT0I*VW+7*TT0I]
// src=207, dst=143
// 4, 1, 15, 0, 143, 207
// src=223, dst=159
// 4, 1, 15, 1, 159, 223
// src=239, dst=175
// 4, 1, 15, 2, 175, 239
// src=255, dst=191
// 4, 1, 15, 3, 191, 255
s_mov_b64 s[10:11], 0xFFFFFFFFFFFFFFFF             // to restore all threads active
s_or_saveexec_b64 vcc, s[10:11]                    // all threads active
s_branch label_0060                                // done shifting

/******************************************/
/* shift d1 r=5                           */
/******************************************/
label_0051:
v_cmp_eq_u32 vcc, v134, 0x0                        // wgMT/(SG*VW) == 0
s_cbranch_vccnz label_0052                         // shift d1, r=5, v=0
v_cmp_eq_u32 vcc, v134, 0x1                        // wgMT/(SG*VW) == 1
s_cbranch_vccnz label_0053                         // shift d1, r=5, v=1

/* shift d1 r=5 v=0 */
label_0052:
_v_cmpx_eq_u32 s[10:11], v133, v131                // serial % SG == (wgMT/VECTOR_WIDTH)%SG
// src=48, dst=0
// 5, 0, 0, 0, 0, 48
v_mov_b32 v0, v24                                  // rC[0+0*TT0I*VW+0*TT0I] = rC[0+0*TT0I*VW+3*TT0I]
// src=64, dst=16
// 5, 0, 0, 1, 16, 64
v_mov_b32 v8, v32                                  // rC[0+0*TT0I*VW+1*TT0I] = rC[0+0*TT0I*VW+4*TT0I]
// src=80, dst=32
// 5, 0, 0, 2, 32, 80
v_mov_b32 v16, v40                                 // rC[0+0*TT0I*VW+2*TT0I] = rC[0+0*TT0I*VW+5*TT0I]
// src=96, dst=48
// 5, 0, 0, 3, 48, 96
v_mov_b32 v24, v48                                 // rC[0+0*TT0I*VW+3*TT0I] = rC[0+0*TT0I*VW+6*TT0I]
// src=112, dst=64
// 5, 0, 0, 4, 64, 112
v_mov_b32 v32, v56                                 // rC[0+0*TT0I*VW+4*TT0I] = rC[0+0*TT0I*VW+7*TT0I]
// src=49, dst=1
// 5, 0, 1, 0, 1, 49
// src=65, dst=17
// 5, 0, 1, 1, 17, 65
	;; [unrolled: 2-line block ×6, first 2 shown]
v_mov_b32 v1, v25                                  // rC[2+0*TT0I*VW+0*TT0I] = rC[2+0*TT0I*VW+3*TT0I]
// src=66, dst=18
// 5, 0, 2, 1, 18, 66
v_mov_b32 v9, v33                                  // rC[2+0*TT0I*VW+1*TT0I] = rC[2+0*TT0I*VW+4*TT0I]
// src=82, dst=34
// 5, 0, 2, 2, 34, 82
v_mov_b32 v17, v41                                 // rC[2+0*TT0I*VW+2*TT0I] = rC[2+0*TT0I*VW+5*TT0I]
// src=98, dst=50
// 5, 0, 2, 3, 50, 98
v_mov_b32 v25, v49                                 // rC[2+0*TT0I*VW+3*TT0I] = rC[2+0*TT0I*VW+6*TT0I]
// src=114, dst=66
// 5, 0, 2, 4, 66, 114
v_mov_b32 v33, v57                                 // rC[2+0*TT0I*VW+4*TT0I] = rC[2+0*TT0I*VW+7*TT0I]
// src=51, dst=3
// 5, 0, 3, 0, 3, 51
// src=67, dst=19
// 5, 0, 3, 1, 19, 67
// src=83, dst=35
// 5, 0, 3, 2, 35, 83
// src=99, dst=51
// 5, 0, 3, 3, 51, 99
// src=115, dst=67
// 5, 0, 3, 4, 67, 115
// src=52, dst=4
// 5, 0, 4, 0, 4, 52
v_mov_b32 v2, v26                                  // rC[4+0*TT0I*VW+0*TT0I] = rC[4+0*TT0I*VW+3*TT0I]
// src=68, dst=20
// 5, 0, 4, 1, 20, 68
v_mov_b32 v10, v34                                 // rC[4+0*TT0I*VW+1*TT0I] = rC[4+0*TT0I*VW+4*TT0I]
// src=84, dst=36
// 5, 0, 4, 2, 36, 84
v_mov_b32 v18, v42                                 // rC[4+0*TT0I*VW+2*TT0I] = rC[4+0*TT0I*VW+5*TT0I]
// src=100, dst=52
// 5, 0, 4, 3, 52, 100
v_mov_b32 v26, v50                                 // rC[4+0*TT0I*VW+3*TT0I] = rC[4+0*TT0I*VW+6*TT0I]
// src=116, dst=68
// 5, 0, 4, 4, 68, 116
v_mov_b32 v34, v58                                 // rC[4+0*TT0I*VW+4*TT0I] = rC[4+0*TT0I*VW+7*TT0I]
// src=53, dst=5
// 5, 0, 5, 0, 5, 53
// src=69, dst=21
// 5, 0, 5, 1, 21, 69
// src=85, dst=37
// 5, 0, 5, 2, 37, 85
// src=101, dst=53
// 5, 0, 5, 3, 53, 101
// src=117, dst=69
// 5, 0, 5, 4, 69, 117
// src=54, dst=6
// 5, 0, 6, 0, 6, 54
v_mov_b32 v3, v27                                  // rC[6+0*TT0I*VW+0*TT0I] = rC[6+0*TT0I*VW+3*TT0I]
// src=70, dst=22
// 5, 0, 6, 1, 22, 70
v_mov_b32 v11, v35                                 // rC[6+0*TT0I*VW+1*TT0I] = rC[6+0*TT0I*VW+4*TT0I]
	;; [unrolled: 25-line block ×6, first 2 shown]
// src=94, dst=46
// 5, 0, 14, 2, 46, 94
v_mov_b32 v23, v47                                 // rC[14+0*TT0I*VW+2*TT0I] = rC[14+0*TT0I*VW+5*TT0I]
// src=110, dst=62
// 5, 0, 14, 3, 62, 110
v_mov_b32 v31, v55                                 // rC[14+0*TT0I*VW+3*TT0I] = rC[14+0*TT0I*VW+6*TT0I]
	;; [unrolled: 3-line block ×3, first 2 shown]
// src=63, dst=15
// 5, 0, 15, 0, 15, 63
// src=79, dst=31
// 5, 0, 15, 1, 31, 79
	;; [unrolled: 2-line block ×5, first 2 shown]
s_mov_b64 s[10:11], 0xFFFFFFFFFFFFFFFF             // to restore all threads active
s_or_saveexec_b64 vcc, s[10:11]                    // all threads active
s_branch label_0060                                // done shifting

/* shift d1 r=5 v=1 */
label_0053:
_v_cmpx_eq_u32 s[10:11], v133, v131                // serial % SG == (wgMT/VECTOR_WIDTH)%SG
// src=176, dst=128
// 5, 1, 0, 0, 128, 176
v_mov_b32 v64, v88                                 // rC[0+1*TT0I*VW+0*TT0I] = rC[0+1*TT0I*VW+3*TT0I]
// src=192, dst=144
// 5, 1, 0, 1, 144, 192
v_mov_b32 v72, v96                                 // rC[0+1*TT0I*VW+1*TT0I] = rC[0+1*TT0I*VW+4*TT0I]
// src=208, dst=160
// 5, 1, 0, 2, 160, 208
v_mov_b32 v80, v104                                // rC[0+1*TT0I*VW+2*TT0I] = rC[0+1*TT0I*VW+5*TT0I]
// src=224, dst=176
// 5, 1, 0, 3, 176, 224
v_mov_b32 v88, v112                                // rC[0+1*TT0I*VW+3*TT0I] = rC[0+1*TT0I*VW+6*TT0I]
// src=240, dst=192
// 5, 1, 0, 4, 192, 240
v_mov_b32 v96, v120                                // rC[0+1*TT0I*VW+4*TT0I] = rC[0+1*TT0I*VW+7*TT0I]
// src=177, dst=129
// 5, 1, 1, 0, 129, 177
// src=193, dst=145
// 5, 1, 1, 1, 145, 193
// src=209, dst=161
// 5, 1, 1, 2, 161, 209
// src=225, dst=177
// 5, 1, 1, 3, 177, 225
// src=241, dst=193
// 5, 1, 1, 4, 193, 241
// src=178, dst=130
// 5, 1, 2, 0, 130, 178
v_mov_b32 v65, v89                                 // rC[2+1*TT0I*VW+0*TT0I] = rC[2+1*TT0I*VW+3*TT0I]
// src=194, dst=146
// 5, 1, 2, 1, 146, 194
v_mov_b32 v73, v97                                 // rC[2+1*TT0I*VW+1*TT0I] = rC[2+1*TT0I*VW+4*TT0I]
// src=210, dst=162
// 5, 1, 2, 2, 162, 210
v_mov_b32 v81, v105                                // rC[2+1*TT0I*VW+2*TT0I] = rC[2+1*TT0I*VW+5*TT0I]
// src=226, dst=178
// 5, 1, 2, 3, 178, 226
v_mov_b32 v89, v113                                // rC[2+1*TT0I*VW+3*TT0I] = rC[2+1*TT0I*VW+6*TT0I]
// src=242, dst=194
// 5, 1, 2, 4, 194, 242
v_mov_b32 v97, v121                                // rC[2+1*TT0I*VW+4*TT0I] = rC[2+1*TT0I*VW+7*TT0I]
// src=179, dst=131
// 5, 1, 3, 0, 131, 179
// src=195, dst=147
// 5, 1, 3, 1, 147, 195
// src=211, dst=163
// 5, 1, 3, 2, 163, 211
// src=227, dst=179
// 5, 1, 3, 3, 179, 227
// src=243, dst=195
// 5, 1, 3, 4, 195, 243
// src=180, dst=132
// 5, 1, 4, 0, 132, 180
v_mov_b32 v66, v90                                 // rC[4+1*TT0I*VW+0*TT0I] = rC[4+1*TT0I*VW+3*TT0I]
// src=196, dst=148
// 5, 1, 4, 1, 148, 196
v_mov_b32 v74, v98                                 // rC[4+1*TT0I*VW+1*TT0I] = rC[4+1*TT0I*VW+4*TT0I]
// src=212, dst=164
// 5, 1, 4, 2, 164, 212
v_mov_b32 v82, v106                                // rC[4+1*TT0I*VW+2*TT0I] = rC[4+1*TT0I*VW+5*TT0I]
// src=228, dst=180
// 5, 1, 4, 3, 180, 228
v_mov_b32 v90, v114                                // rC[4+1*TT0I*VW+3*TT0I] = rC[4+1*TT0I*VW+6*TT0I]
// src=244, dst=196
// 5, 1, 4, 4, 196, 244
v_mov_b32 v98, v122                                // rC[4+1*TT0I*VW+4*TT0I] = rC[4+1*TT0I*VW+7*TT0I]
// src=181, dst=133
// 5, 1, 5, 0, 133, 181
// src=197, dst=149
// 5, 1, 5, 1, 149, 197
// src=213, dst=165
// 5, 1, 5, 2, 165, 213
// src=229, dst=181
// 5, 1, 5, 3, 181, 229
// src=245, dst=197
// 5, 1, 5, 4, 197, 245
// src=182, dst=134
// 5, 1, 6, 0, 134, 182
v_mov_b32 v67, v91                                 // rC[6+1*TT0I*VW+0*TT0I] = rC[6+1*TT0I*VW+3*TT0I]
// src=198, dst=150
// 5, 1, 6, 1, 150, 198
v_mov_b32 v75, v99                                 // rC[6+1*TT0I*VW+1*TT0I] = rC[6+1*TT0I*VW+4*TT0I]
// src=214, dst=166
// 5, 1, 6, 2, 166, 214
v_mov_b32 v83, v107                                // rC[6+1*TT0I*VW+2*TT0I] = rC[6+1*TT0I*VW+5*TT0I]
// src=230, dst=182
// 5, 1, 6, 3, 182, 230
v_mov_b32 v91, v115                                // rC[6+1*TT0I*VW+3*TT0I] = rC[6+1*TT0I*VW+6*TT0I]
// src=246, dst=198
// 5, 1, 6, 4, 198, 246
v_mov_b32 v99, v123                                // rC[6+1*TT0I*VW+4*TT0I] = rC[6+1*TT0I*VW+7*TT0I]
// src=183, dst=135
// 5, 1, 7, 0, 135, 183
// src=199, dst=151
// 5, 1, 7, 1, 151, 199
// src=215, dst=167
// 5, 1, 7, 2, 167, 215
// src=231, dst=183
// 5, 1, 7, 3, 183, 231
// src=247, dst=199
// 5, 1, 7, 4, 199, 247
// src=184, dst=136
// 5, 1, 8, 0, 136, 184
v_mov_b32 v68, v92                                 // rC[8+1*TT0I*VW+0*TT0I] = rC[8+1*TT0I*VW+3*TT0I]
// src=200, dst=152
// 5, 1, 8, 1, 152, 200
v_mov_b32 v76, v100                                // rC[8+1*TT0I*VW+1*TT0I] = rC[8+1*TT0I*VW+4*TT0I]
// src=216, dst=168
// 5, 1, 8, 2, 168, 216
v_mov_b32 v84, v108                                // rC[8+1*TT0I*VW+2*TT0I] = rC[8+1*TT0I*VW+5*TT0I]
// src=232, dst=184
// 5, 1, 8, 3, 184, 232
v_mov_b32 v92, v116                                // rC[8+1*TT0I*VW+3*TT0I] = rC[8+1*TT0I*VW+6*TT0I]
// src=248, dst=200
// 5, 1, 8, 4, 200, 248
v_mov_b32 v100, v124                               // rC[8+1*TT0I*VW+4*TT0I] = rC[8+1*TT0I*VW+7*TT0I]
// src=185, dst=137
// 5, 1, 9, 0, 137, 185
// src=201, dst=153
// 5, 1, 9, 1, 153, 201
// src=217, dst=169
// 5, 1, 9, 2, 169, 217
// src=233, dst=185
// 5, 1, 9, 3, 185, 233
// src=249, dst=201
// 5, 1, 9, 4, 201, 249
// src=186, dst=138
// 5, 1, 10, 0, 138, 186
v_mov_b32 v69, v93                                 // rC[10+1*TT0I*VW+0*TT0I] = rC[10+1*TT0I*VW+3*TT0I]
// src=202, dst=154
// 5, 1, 10, 1, 154, 202
v_mov_b32 v77, v101                                // rC[10+1*TT0I*VW+1*TT0I] = rC[10+1*TT0I*VW+4*TT0I]
// src=218, dst=170
// 5, 1, 10, 2, 170, 218
v_mov_b32 v85, v109                                // rC[10+1*TT0I*VW+2*TT0I] = rC[10+1*TT0I*VW+5*TT0I]
// src=234, dst=186
// 5, 1, 10, 3, 186, 234
v_mov_b32 v93, v117                                // rC[10+1*TT0I*VW+3*TT0I] = rC[10+1*TT0I*VW+6*TT0I]
// src=250, dst=202
// 5, 1, 10, 4, 202, 250
v_mov_b32 v101, v125                               // rC[10+1*TT0I*VW+4*TT0I] = rC[10+1*TT0I*VW+7*TT0I]
// src=187, dst=139
// 5, 1, 11, 0, 139, 187
// src=203, dst=155
// 5, 1, 11, 1, 155, 203
// src=219, dst=171
// 5, 1, 11, 2, 171, 219
// src=235, dst=187
// 5, 1, 11, 3, 187, 235
// src=251, dst=203
// 5, 1, 11, 4, 203, 251
	;; [unrolled: 25-line block ×4, first 2 shown]
s_mov_b64 s[10:11], 0xFFFFFFFFFFFFFFFF             // to restore all threads active
s_or_saveexec_b64 vcc, s[10:11]                    // all threads active
s_branch label_0060                                // done shifting

/******************************************/
/* shift d1 r=6                           */
/******************************************/
label_0054:
v_cmp_eq_u32 vcc, v134, 0x0                        // wgMT/(SG*VW) == 0
s_cbranch_vccnz label_0055                         // shift d1, r=6, v=0
v_cmp_eq_u32 vcc, v134, 0x1                        // wgMT/(SG*VW) == 1
s_cbranch_vccnz label_0056                         // shift d1, r=6, v=1

/* shift d1 r=6 v=0 */
label_0055:
_v_cmpx_eq_u32 s[10:11], v133, v131                // serial % SG == (wgMT/VECTOR_WIDTH)%SG
// src=32, dst=0
// 6, 0, 0, 0, 0, 32
v_mov_b32 v0, v16                                  // rC[0+0*TT0I*VW+0*TT0I] = rC[0+0*TT0I*VW+2*TT0I]
// src=48, dst=16
// 6, 0, 0, 1, 16, 48
v_mov_b32 v8, v24                                  // rC[0+0*TT0I*VW+1*TT0I] = rC[0+0*TT0I*VW+3*TT0I]
// src=64, dst=32
// 6, 0, 0, 2, 32, 64
v_mov_b32 v16, v32                                 // rC[0+0*TT0I*VW+2*TT0I] = rC[0+0*TT0I*VW+4*TT0I]
// src=80, dst=48
// 6, 0, 0, 3, 48, 80
v_mov_b32 v24, v40                                 // rC[0+0*TT0I*VW+3*TT0I] = rC[0+0*TT0I*VW+5*TT0I]
	;; [unrolled: 3-line block ×4, first 2 shown]
// src=33, dst=1
// 6, 0, 1, 0, 1, 33
// src=49, dst=17
// 6, 0, 1, 1, 17, 49
	;; [unrolled: 2-line block ×7, first 2 shown]
v_mov_b32 v1, v17                                  // rC[2+0*TT0I*VW+0*TT0I] = rC[2+0*TT0I*VW+2*TT0I]
// src=50, dst=18
// 6, 0, 2, 1, 18, 50
v_mov_b32 v9, v25                                  // rC[2+0*TT0I*VW+1*TT0I] = rC[2+0*TT0I*VW+3*TT0I]
// src=66, dst=34
// 6, 0, 2, 2, 34, 66
v_mov_b32 v17, v33                                 // rC[2+0*TT0I*VW+2*TT0I] = rC[2+0*TT0I*VW+4*TT0I]
// src=82, dst=50
// 6, 0, 2, 3, 50, 82
v_mov_b32 v25, v41                                 // rC[2+0*TT0I*VW+3*TT0I] = rC[2+0*TT0I*VW+5*TT0I]
// src=98, dst=66
// 6, 0, 2, 4, 66, 98
v_mov_b32 v33, v49                                 // rC[2+0*TT0I*VW+4*TT0I] = rC[2+0*TT0I*VW+6*TT0I]
// src=114, dst=82
// 6, 0, 2, 5, 82, 114
v_mov_b32 v41, v57                                 // rC[2+0*TT0I*VW+5*TT0I] = rC[2+0*TT0I*VW+7*TT0I]
// src=35, dst=3
// 6, 0, 3, 0, 3, 35
// src=51, dst=19
// 6, 0, 3, 1, 19, 51
// src=67, dst=35
// 6, 0, 3, 2, 35, 67
// src=83, dst=51
// 6, 0, 3, 3, 51, 83
// src=99, dst=67
// 6, 0, 3, 4, 67, 99
// src=115, dst=83
// 6, 0, 3, 5, 83, 115
// src=36, dst=4
// 6, 0, 4, 0, 4, 36
v_mov_b32 v2, v18                                  // rC[4+0*TT0I*VW+0*TT0I] = rC[4+0*TT0I*VW+2*TT0I]
// src=52, dst=20
// 6, 0, 4, 1, 20, 52
v_mov_b32 v10, v26                                 // rC[4+0*TT0I*VW+1*TT0I] = rC[4+0*TT0I*VW+3*TT0I]
// src=68, dst=36
// 6, 0, 4, 2, 36, 68
v_mov_b32 v18, v34                                 // rC[4+0*TT0I*VW+2*TT0I] = rC[4+0*TT0I*VW+4*TT0I]
// src=84, dst=52
// 6, 0, 4, 3, 52, 84
v_mov_b32 v26, v42                                 // rC[4+0*TT0I*VW+3*TT0I] = rC[4+0*TT0I*VW+5*TT0I]
// src=100, dst=68
// 6, 0, 4, 4, 68, 100
v_mov_b32 v34, v50                                 // rC[4+0*TT0I*VW+4*TT0I] = rC[4+0*TT0I*VW+6*TT0I]
// src=116, dst=84
// 6, 0, 4, 5, 84, 116
v_mov_b32 v42, v58                                 // rC[4+0*TT0I*VW+5*TT0I] = rC[4+0*TT0I*VW+7*TT0I]
// src=37, dst=5
// 6, 0, 5, 0, 5, 37
// src=53, dst=21
// 6, 0, 5, 1, 21, 53
// src=69, dst=37
// 6, 0, 5, 2, 37, 69
// src=85, dst=53
// 6, 0, 5, 3, 53, 85
// src=101, dst=69
// 6, 0, 5, 4, 69, 101
// src=117, dst=85
// 6, 0, 5, 5, 85, 117
// src=38, dst=6
// 6, 0, 6, 0, 6, 38
v_mov_b32 v3, v19                                  // rC[6+0*TT0I*VW+0*TT0I] = rC[6+0*TT0I*VW+2*TT0I]
// src=54, dst=22
// 6, 0, 6, 1, 22, 54
v_mov_b32 v11, v27                                 // rC[6+0*TT0I*VW+1*TT0I] = rC[6+0*TT0I*VW+3*TT0I]
	;; [unrolled: 30-line block ×6, first 2 shown]
// src=78, dst=46
// 6, 0, 14, 2, 46, 78
v_mov_b32 v23, v39                                 // rC[14+0*TT0I*VW+2*TT0I] = rC[14+0*TT0I*VW+4*TT0I]
// src=94, dst=62
// 6, 0, 14, 3, 62, 94
v_mov_b32 v31, v47                                 // rC[14+0*TT0I*VW+3*TT0I] = rC[14+0*TT0I*VW+5*TT0I]
	;; [unrolled: 3-line block ×4, first 2 shown]
// src=47, dst=15
// 6, 0, 15, 0, 15, 47
// src=63, dst=31
// 6, 0, 15, 1, 31, 63
	;; [unrolled: 2-line block ×6, first 2 shown]
s_mov_b64 s[10:11], 0xFFFFFFFFFFFFFFFF             // to restore all threads active
s_or_saveexec_b64 vcc, s[10:11]                    // all threads active
s_branch label_0060                                // done shifting

/* shift d1 r=6 v=1 */
label_0056:
_v_cmpx_eq_u32 s[10:11], v133, v131                // serial % SG == (wgMT/VECTOR_WIDTH)%SG
// src=160, dst=128
// 6, 1, 0, 0, 128, 160
v_mov_b32 v64, v80                                 // rC[0+1*TT0I*VW+0*TT0I] = rC[0+1*TT0I*VW+2*TT0I]
// src=176, dst=144
// 6, 1, 0, 1, 144, 176
v_mov_b32 v72, v88                                 // rC[0+1*TT0I*VW+1*TT0I] = rC[0+1*TT0I*VW+3*TT0I]
// src=192, dst=160
// 6, 1, 0, 2, 160, 192
v_mov_b32 v80, v96                                 // rC[0+1*TT0I*VW+2*TT0I] = rC[0+1*TT0I*VW+4*TT0I]
// src=208, dst=176
// 6, 1, 0, 3, 176, 208
v_mov_b32 v88, v104                                // rC[0+1*TT0I*VW+3*TT0I] = rC[0+1*TT0I*VW+5*TT0I]
// src=224, dst=192
// 6, 1, 0, 4, 192, 224
v_mov_b32 v96, v112                                // rC[0+1*TT0I*VW+4*TT0I] = rC[0+1*TT0I*VW+6*TT0I]
// src=240, dst=208
// 6, 1, 0, 5, 208, 240
v_mov_b32 v104, v120                               // rC[0+1*TT0I*VW+5*TT0I] = rC[0+1*TT0I*VW+7*TT0I]
// src=161, dst=129
// 6, 1, 1, 0, 129, 161
// src=177, dst=145
// 6, 1, 1, 1, 145, 177
// src=193, dst=161
// 6, 1, 1, 2, 161, 193
// src=209, dst=177
// 6, 1, 1, 3, 177, 209
// src=225, dst=193
// 6, 1, 1, 4, 193, 225
// src=241, dst=209
// 6, 1, 1, 5, 209, 241
// src=162, dst=130
// 6, 1, 2, 0, 130, 162
v_mov_b32 v65, v81                                 // rC[2+1*TT0I*VW+0*TT0I] = rC[2+1*TT0I*VW+2*TT0I]
// src=178, dst=146
// 6, 1, 2, 1, 146, 178
v_mov_b32 v73, v89                                 // rC[2+1*TT0I*VW+1*TT0I] = rC[2+1*TT0I*VW+3*TT0I]
// src=194, dst=162
// 6, 1, 2, 2, 162, 194
v_mov_b32 v81, v97                                 // rC[2+1*TT0I*VW+2*TT0I] = rC[2+1*TT0I*VW+4*TT0I]
// src=210, dst=178
// 6, 1, 2, 3, 178, 210
v_mov_b32 v89, v105                                // rC[2+1*TT0I*VW+3*TT0I] = rC[2+1*TT0I*VW+5*TT0I]
// src=226, dst=194
// 6, 1, 2, 4, 194, 226
v_mov_b32 v97, v113                                // rC[2+1*TT0I*VW+4*TT0I] = rC[2+1*TT0I*VW+6*TT0I]
// src=242, dst=210
// 6, 1, 2, 5, 210, 242
v_mov_b32 v105, v121                               // rC[2+1*TT0I*VW+5*TT0I] = rC[2+1*TT0I*VW+7*TT0I]
// src=163, dst=131
// 6, 1, 3, 0, 131, 163
// src=179, dst=147
// 6, 1, 3, 1, 147, 179
// src=195, dst=163
// 6, 1, 3, 2, 163, 195
// src=211, dst=179
// 6, 1, 3, 3, 179, 211
// src=227, dst=195
// 6, 1, 3, 4, 195, 227
// src=243, dst=211
// 6, 1, 3, 5, 211, 243
	;; [unrolled: 30-line block ×4, first 2 shown]
// src=168, dst=136
// 6, 1, 8, 0, 136, 168
v_mov_b32 v68, v84                                 // rC[8+1*TT0I*VW+0*TT0I] = rC[8+1*TT0I*VW+2*TT0I]
// src=184, dst=152
// 6, 1, 8, 1, 152, 184
v_mov_b32 v76, v92                                 // rC[8+1*TT0I*VW+1*TT0I] = rC[8+1*TT0I*VW+3*TT0I]
// src=200, dst=168
// 6, 1, 8, 2, 168, 200
v_mov_b32 v84, v100                                // rC[8+1*TT0I*VW+2*TT0I] = rC[8+1*TT0I*VW+4*TT0I]
// src=216, dst=184
// 6, 1, 8, 3, 184, 216
v_mov_b32 v92, v108                                // rC[8+1*TT0I*VW+3*TT0I] = rC[8+1*TT0I*VW+5*TT0I]
// src=232, dst=200
// 6, 1, 8, 4, 200, 232
v_mov_b32 v100, v116                               // rC[8+1*TT0I*VW+4*TT0I] = rC[8+1*TT0I*VW+6*TT0I]
// src=248, dst=216
// 6, 1, 8, 5, 216, 248
v_mov_b32 v108, v124                               // rC[8+1*TT0I*VW+5*TT0I] = rC[8+1*TT0I*VW+7*TT0I]
// src=169, dst=137
// 6, 1, 9, 0, 137, 169
// src=185, dst=153
// 6, 1, 9, 1, 153, 185
// src=201, dst=169
// 6, 1, 9, 2, 169, 201
// src=217, dst=185
// 6, 1, 9, 3, 185, 217
// src=233, dst=201
// 6, 1, 9, 4, 201, 233
// src=249, dst=217
// 6, 1, 9, 5, 217, 249
// src=170, dst=138
// 6, 1, 10, 0, 138, 170
v_mov_b32 v69, v85                                 // rC[10+1*TT0I*VW+0*TT0I] = rC[10+1*TT0I*VW+2*TT0I]
// src=186, dst=154
// 6, 1, 10, 1, 154, 186
v_mov_b32 v77, v93                                 // rC[10+1*TT0I*VW+1*TT0I] = rC[10+1*TT0I*VW+3*TT0I]
// src=202, dst=170
// 6, 1, 10, 2, 170, 202
v_mov_b32 v85, v101                                // rC[10+1*TT0I*VW+2*TT0I] = rC[10+1*TT0I*VW+4*TT0I]
// src=218, dst=186
// 6, 1, 10, 3, 186, 218
v_mov_b32 v93, v109                                // rC[10+1*TT0I*VW+3*TT0I] = rC[10+1*TT0I*VW+5*TT0I]
// src=234, dst=202
// 6, 1, 10, 4, 202, 234
v_mov_b32 v101, v117                               // rC[10+1*TT0I*VW+4*TT0I] = rC[10+1*TT0I*VW+6*TT0I]
// src=250, dst=218
// 6, 1, 10, 5, 218, 250
v_mov_b32 v109, v125                               // rC[10+1*TT0I*VW+5*TT0I] = rC[10+1*TT0I*VW+7*TT0I]
// src=171, dst=139
// 6, 1, 11, 0, 139, 171
// src=187, dst=155
// 6, 1, 11, 1, 155, 187
// src=203, dst=171
// 6, 1, 11, 2, 171, 203
// src=219, dst=187
// 6, 1, 11, 3, 187, 219
// src=235, dst=203
// 6, 1, 11, 4, 203, 235
// src=251, dst=219
// 6, 1, 11, 5, 219, 251
	;; [unrolled: 30-line block ×4, first 2 shown]
s_mov_b64 s[10:11], 0xFFFFFFFFFFFFFFFF             // to restore all threads active
s_or_saveexec_b64 vcc, s[10:11]                    // all threads active
s_branch label_0060                                // done shifting

/******************************************/
/* shift d1 r=7                           */
/******************************************/
label_0057:
v_cmp_eq_u32 vcc, v134, 0x0                        // wgMT/(SG*VW) == 0
s_cbranch_vccnz label_0058                         // shift d1, r=7, v=0
v_cmp_eq_u32 vcc, v134, 0x1                        // wgMT/(SG*VW) == 1
s_cbranch_vccnz label_0059                         // shift d1, r=7, v=1

/* shift d1 r=7 v=0 */
label_0058:
_v_cmpx_eq_u32 s[10:11], v133, v131                // serial % SG == (wgMT/VECTOR_WIDTH)%SG
// src=16, dst=0
// 7, 0, 0, 0, 0, 16
v_mov_b32 v0, v8                                   // rC[0+0*TT0I*VW+0*TT0I] = rC[0+0*TT0I*VW+1*TT0I]
// src=32, dst=16
// 7, 0, 0, 1, 16, 32
v_mov_b32 v8, v16                                  // rC[0+0*TT0I*VW+1*TT0I] = rC[0+0*TT0I*VW+2*TT0I]
// src=48, dst=32
// 7, 0, 0, 2, 32, 48
v_mov_b32 v16, v24                                 // rC[0+0*TT0I*VW+2*TT0I] = rC[0+0*TT0I*VW+3*TT0I]
// src=64, dst=48
// 7, 0, 0, 3, 48, 64
v_mov_b32 v24, v32                                 // rC[0+0*TT0I*VW+3*TT0I] = rC[0+0*TT0I*VW+4*TT0I]
	;; [unrolled: 3-line block ×5, first 2 shown]
// src=17, dst=1
// 7, 0, 1, 0, 1, 17
// src=33, dst=17
// 7, 0, 1, 1, 17, 33
	;; [unrolled: 2-line block ×8, first 2 shown]
v_mov_b32 v1, v9                                   // rC[2+0*TT0I*VW+0*TT0I] = rC[2+0*TT0I*VW+1*TT0I]
// src=34, dst=18
// 7, 0, 2, 1, 18, 34
v_mov_b32 v9, v17                                  // rC[2+0*TT0I*VW+1*TT0I] = rC[2+0*TT0I*VW+2*TT0I]
// src=50, dst=34
// 7, 0, 2, 2, 34, 50
v_mov_b32 v17, v25                                 // rC[2+0*TT0I*VW+2*TT0I] = rC[2+0*TT0I*VW+3*TT0I]
// src=66, dst=50
// 7, 0, 2, 3, 50, 66
v_mov_b32 v25, v33                                 // rC[2+0*TT0I*VW+3*TT0I] = rC[2+0*TT0I*VW+4*TT0I]
// src=82, dst=66
// 7, 0, 2, 4, 66, 82
v_mov_b32 v33, v41                                 // rC[2+0*TT0I*VW+4*TT0I] = rC[2+0*TT0I*VW+5*TT0I]
// src=98, dst=82
// 7, 0, 2, 5, 82, 98
v_mov_b32 v41, v49                                 // rC[2+0*TT0I*VW+5*TT0I] = rC[2+0*TT0I*VW+6*TT0I]
// src=114, dst=98
// 7, 0, 2, 6, 98, 114
v_mov_b32 v49, v57                                 // rC[2+0*TT0I*VW+6*TT0I] = rC[2+0*TT0I*VW+7*TT0I]
// src=19, dst=3
// 7, 0, 3, 0, 3, 19
// src=35, dst=19
// 7, 0, 3, 1, 19, 35
// src=51, dst=35
// 7, 0, 3, 2, 35, 51
// src=67, dst=51
// 7, 0, 3, 3, 51, 67
// src=83, dst=67
// 7, 0, 3, 4, 67, 83
// src=99, dst=83
// 7, 0, 3, 5, 83, 99
// src=115, dst=99
// 7, 0, 3, 6, 99, 115
// src=20, dst=4
// 7, 0, 4, 0, 4, 20
v_mov_b32 v2, v10                                  // rC[4+0*TT0I*VW+0*TT0I] = rC[4+0*TT0I*VW+1*TT0I]
// src=36, dst=20
// 7, 0, 4, 1, 20, 36
v_mov_b32 v10, v18                                 // rC[4+0*TT0I*VW+1*TT0I] = rC[4+0*TT0I*VW+2*TT0I]
// src=52, dst=36
// 7, 0, 4, 2, 36, 52
v_mov_b32 v18, v26                                 // rC[4+0*TT0I*VW+2*TT0I] = rC[4+0*TT0I*VW+3*TT0I]
// src=68, dst=52
// 7, 0, 4, 3, 52, 68
v_mov_b32 v26, v34                                 // rC[4+0*TT0I*VW+3*TT0I] = rC[4+0*TT0I*VW+4*TT0I]
// src=84, dst=68
// 7, 0, 4, 4, 68, 84
v_mov_b32 v34, v42                                 // rC[4+0*TT0I*VW+4*TT0I] = rC[4+0*TT0I*VW+5*TT0I]
// src=100, dst=84
// 7, 0, 4, 5, 84, 100
v_mov_b32 v42, v50                                 // rC[4+0*TT0I*VW+5*TT0I] = rC[4+0*TT0I*VW+6*TT0I]
// src=116, dst=100
// 7, 0, 4, 6, 100, 116
v_mov_b32 v50, v58                                 // rC[4+0*TT0I*VW+6*TT0I] = rC[4+0*TT0I*VW+7*TT0I]
// src=21, dst=5
// 7, 0, 5, 0, 5, 21
// src=37, dst=21
// 7, 0, 5, 1, 21, 37
// src=53, dst=37
// 7, 0, 5, 2, 37, 53
// src=69, dst=53
// 7, 0, 5, 3, 53, 69
// src=85, dst=69
// 7, 0, 5, 4, 69, 85
// src=101, dst=85
// 7, 0, 5, 5, 85, 101
// src=117, dst=101
// 7, 0, 5, 6, 101, 117
// src=22, dst=6
// 7, 0, 6, 0, 6, 22
v_mov_b32 v3, v11                                  // rC[6+0*TT0I*VW+0*TT0I] = rC[6+0*TT0I*VW+1*TT0I]
// src=38, dst=22
// 7, 0, 6, 1, 22, 38
v_mov_b32 v11, v19                                 // rC[6+0*TT0I*VW+1*TT0I] = rC[6+0*TT0I*VW+2*TT0I]
	;; [unrolled: 35-line block ×6, first 2 shown]
// src=62, dst=46
// 7, 0, 14, 2, 46, 62
v_mov_b32 v23, v31                                 // rC[14+0*TT0I*VW+2*TT0I] = rC[14+0*TT0I*VW+3*TT0I]
// src=78, dst=62
// 7, 0, 14, 3, 62, 78
v_mov_b32 v31, v39                                 // rC[14+0*TT0I*VW+3*TT0I] = rC[14+0*TT0I*VW+4*TT0I]
	;; [unrolled: 3-line block ×5, first 2 shown]
// src=31, dst=15
// 7, 0, 15, 0, 15, 31
// src=47, dst=31
// 7, 0, 15, 1, 31, 47
	;; [unrolled: 2-line block ×7, first 2 shown]
s_mov_b64 s[10:11], 0xFFFFFFFFFFFFFFFF             // to restore all threads active
s_or_saveexec_b64 vcc, s[10:11]                    // all threads active
s_branch label_0060                                // done shifting

/* shift d1 r=7 v=1 */
label_0059:
_v_cmpx_eq_u32 s[10:11], v133, v131                // serial % SG == (wgMT/VECTOR_WIDTH)%SG
// src=144, dst=128
// 7, 1, 0, 0, 128, 144
v_mov_b32 v64, v72                                 // rC[0+1*TT0I*VW+0*TT0I] = rC[0+1*TT0I*VW+1*TT0I]
// src=160, dst=144
// 7, 1, 0, 1, 144, 160
v_mov_b32 v72, v80                                 // rC[0+1*TT0I*VW+1*TT0I] = rC[0+1*TT0I*VW+2*TT0I]
// src=176, dst=160
// 7, 1, 0, 2, 160, 176
v_mov_b32 v80, v88                                 // rC[0+1*TT0I*VW+2*TT0I] = rC[0+1*TT0I*VW+3*TT0I]
// src=192, dst=176
// 7, 1, 0, 3, 176, 192
v_mov_b32 v88, v96                                 // rC[0+1*TT0I*VW+3*TT0I] = rC[0+1*TT0I*VW+4*TT0I]
// src=208, dst=192
// 7, 1, 0, 4, 192, 208
v_mov_b32 v96, v104                                // rC[0+1*TT0I*VW+4*TT0I] = rC[0+1*TT0I*VW+5*TT0I]
// src=224, dst=208
// 7, 1, 0, 5, 208, 224
v_mov_b32 v104, v112                               // rC[0+1*TT0I*VW+5*TT0I] = rC[0+1*TT0I*VW+6*TT0I]
// src=240, dst=224
// 7, 1, 0, 6, 224, 240
v_mov_b32 v112, v120                               // rC[0+1*TT0I*VW+6*TT0I] = rC[0+1*TT0I*VW+7*TT0I]
// src=145, dst=129
// 7, 1, 1, 0, 129, 145
// src=161, dst=145
// 7, 1, 1, 1, 145, 161
// src=177, dst=161
// 7, 1, 1, 2, 161, 177
// src=193, dst=177
// 7, 1, 1, 3, 177, 193
// src=209, dst=193
// 7, 1, 1, 4, 193, 209
// src=225, dst=209
// 7, 1, 1, 5, 209, 225
// src=241, dst=225
// 7, 1, 1, 6, 225, 241
// src=146, dst=130
// 7, 1, 2, 0, 130, 146
v_mov_b32 v65, v73                                 // rC[2+1*TT0I*VW+0*TT0I] = rC[2+1*TT0I*VW+1*TT0I]
// src=162, dst=146
// 7, 1, 2, 1, 146, 162
v_mov_b32 v73, v81                                 // rC[2+1*TT0I*VW+1*TT0I] = rC[2+1*TT0I*VW+2*TT0I]
// src=178, dst=162
// 7, 1, 2, 2, 162, 178
v_mov_b32 v81, v89                                 // rC[2+1*TT0I*VW+2*TT0I] = rC[2+1*TT0I*VW+3*TT0I]
// src=194, dst=178
// 7, 1, 2, 3, 178, 194
v_mov_b32 v89, v97                                 // rC[2+1*TT0I*VW+3*TT0I] = rC[2+1*TT0I*VW+4*TT0I]
// src=210, dst=194
// 7, 1, 2, 4, 194, 210
v_mov_b32 v97, v105                                // rC[2+1*TT0I*VW+4*TT0I] = rC[2+1*TT0I*VW+5*TT0I]
// src=226, dst=210
// 7, 1, 2, 5, 210, 226
v_mov_b32 v105, v113                               // rC[2+1*TT0I*VW+5*TT0I] = rC[2+1*TT0I*VW+6*TT0I]
// src=242, dst=226
// 7, 1, 2, 6, 226, 242
v_mov_b32 v113, v121                               // rC[2+1*TT0I*VW+6*TT0I] = rC[2+1*TT0I*VW+7*TT0I]
// src=147, dst=131
// 7, 1, 3, 0, 131, 147
// src=163, dst=147
// 7, 1, 3, 1, 147, 163
// src=179, dst=163
// 7, 1, 3, 2, 163, 179
// src=195, dst=179
// 7, 1, 3, 3, 179, 195
// src=211, dst=195
// 7, 1, 3, 4, 195, 211
// src=227, dst=211
// 7, 1, 3, 5, 211, 227
// src=243, dst=227
// 7, 1, 3, 6, 227, 243
	;; [unrolled: 35-line block ×4, first 2 shown]
// src=152, dst=136
// 7, 1, 8, 0, 136, 152
v_mov_b32 v68, v76                                 // rC[8+1*TT0I*VW+0*TT0I] = rC[8+1*TT0I*VW+1*TT0I]
// src=168, dst=152
// 7, 1, 8, 1, 152, 168
v_mov_b32 v76, v84                                 // rC[8+1*TT0I*VW+1*TT0I] = rC[8+1*TT0I*VW+2*TT0I]
// src=184, dst=168
// 7, 1, 8, 2, 168, 184
v_mov_b32 v84, v92                                 // rC[8+1*TT0I*VW+2*TT0I] = rC[8+1*TT0I*VW+3*TT0I]
// src=200, dst=184
// 7, 1, 8, 3, 184, 200
v_mov_b32 v92, v100                                // rC[8+1*TT0I*VW+3*TT0I] = rC[8+1*TT0I*VW+4*TT0I]
// src=216, dst=200
// 7, 1, 8, 4, 200, 216
v_mov_b32 v100, v108                               // rC[8+1*TT0I*VW+4*TT0I] = rC[8+1*TT0I*VW+5*TT0I]
// src=232, dst=216
// 7, 1, 8, 5, 216, 232
v_mov_b32 v108, v116                               // rC[8+1*TT0I*VW+5*TT0I] = rC[8+1*TT0I*VW+6*TT0I]
// src=248, dst=232
// 7, 1, 8, 6, 232, 248
v_mov_b32 v116, v124                               // rC[8+1*TT0I*VW+6*TT0I] = rC[8+1*TT0I*VW+7*TT0I]
// src=153, dst=137
// 7, 1, 9, 0, 137, 153
// src=169, dst=153
// 7, 1, 9, 1, 153, 169
// src=185, dst=169
// 7, 1, 9, 2, 169, 185
// src=201, dst=185
// 7, 1, 9, 3, 185, 201
// src=217, dst=201
// 7, 1, 9, 4, 201, 217
// src=233, dst=217
// 7, 1, 9, 5, 217, 233
// src=249, dst=233
// 7, 1, 9, 6, 233, 249
// src=154, dst=138
// 7, 1, 10, 0, 138, 154
v_mov_b32 v69, v77                                 // rC[10+1*TT0I*VW+0*TT0I] = rC[10+1*TT0I*VW+1*TT0I]
// src=170, dst=154
// 7, 1, 10, 1, 154, 170
v_mov_b32 v77, v85                                 // rC[10+1*TT0I*VW+1*TT0I] = rC[10+1*TT0I*VW+2*TT0I]
// src=186, dst=170
// 7, 1, 10, 2, 170, 186
v_mov_b32 v85, v93                                 // rC[10+1*TT0I*VW+2*TT0I] = rC[10+1*TT0I*VW+3*TT0I]
// src=202, dst=186
// 7, 1, 10, 3, 186, 202
v_mov_b32 v93, v101                                // rC[10+1*TT0I*VW+3*TT0I] = rC[10+1*TT0I*VW+4*TT0I]
// src=218, dst=202
// 7, 1, 10, 4, 202, 218
v_mov_b32 v101, v109                               // rC[10+1*TT0I*VW+4*TT0I] = rC[10+1*TT0I*VW+5*TT0I]
// src=234, dst=218
// 7, 1, 10, 5, 218, 234
v_mov_b32 v109, v117                               // rC[10+1*TT0I*VW+5*TT0I] = rC[10+1*TT0I*VW+6*TT0I]
// src=250, dst=234
// 7, 1, 10, 6, 234, 250
v_mov_b32 v117, v125                               // rC[10+1*TT0I*VW+6*TT0I] = rC[10+1*TT0I*VW+7*TT0I]
// src=155, dst=139
// 7, 1, 11, 0, 139, 155
// src=171, dst=155
// 7, 1, 11, 1, 155, 171
// src=187, dst=171
// 7, 1, 11, 2, 171, 187
// src=203, dst=187
// 7, 1, 11, 3, 187, 203
// src=219, dst=203
// 7, 1, 11, 4, 203, 219
// src=235, dst=219
// 7, 1, 11, 5, 219, 235
// src=251, dst=235
// 7, 1, 11, 6, 235, 251
	;; [unrolled: 35-line block ×4, first 2 shown]
s_mov_b64 s[10:11], 0xFFFFFFFFFFFFFFFF             // to restore all threads active
s_or_saveexec_b64 vcc, s[10:11]                    // all threads active
s_branch label_0060                                // done shifting
label_0060: // end shift0



/* not-LocalSplitU: global write indices */

/* computeStoreVgprs */
v_lshrrev_b32 v129, 4, v[vgprSerial]               // v129 = v[vgprSerial] / 16
v_and_b32 v128, 15, v[vgprSerial]                  // v128 = v[vgprSerial] % 16
v_lshlrev_b32 v128, 0x2, v128                      // v128 = v128 * 4
v_lshlrev_b32 v129, 0x2, v129                      // v129 = v129 * 4
v_mul_lo_u32 v130, v129, s[sgprStrideC1J]          // rowStart vgpr
v_mul_lo_u32 v131, v129, s[sgprStrideD1J]          // rowStart vgpr

s_mul_i32 s58, 0x100, s[sgprWorkGroup0]            // s58 = wg0*MT0
_v_add_co_u32 v128, vcc, s58, v128                 // coord0 = tid0*VW + wg0*MT0
s_mul_i32 s60, 0x100, s[sgprWorkGroup1]            // <- wg1*MT1
_v_add_co_u32 v129, vcc, s60, v129                 // coord1 = tid1*VW + wg1*MT1


/* not-LocalSplitU: global write */

s_and_b32 s58, 255, s[sgprSizeI]                   // s58 = s[sgprSizeI] % 256
s_add_u32 s59, -0x1, s[sgprNumWorkGroups0]         // 
s_cmp_ge_u32 s[sgprWorkGroup0], s59                // wg0 >= nwg0-1 ?
s_cselect_b32 s58, s58, 0                          // set rMT0
s_cmpk_gt_u32 s58, 0x0                             // rMT0 > 0
s_cbranch_scc1 GW_B0_E1_68                         // jump if edges required
s_and_b32 s58, 255, s[sgprSizeJ]                   // s58 = s[sgprSizeJ] % 256
s_add_u32 s59, -0x1, s[sgprNumWorkGroups1]         // 
s_cmp_ge_u32 s[sgprWorkGroup1], s59                // wg1 >= nwg1-1
s_cselect_b32 s58, s58, 0                          // set rMT1
s_cmpk_gt_u32 s58, 0x0                             // rMT1 > 0
s_cbranch_scc1 GW_B0_E1_68                         // jump if edges required
GW_B0_E0_65:

/* edge=0, allocate 28 sgpr. perBatchTmpS=4 perBatchMaskS=0 perElementMaskS=4 elementsPerBatch=6 */
/* optSingleColVgpr=0 optSharedColVgpr=0 optSGPRUsage=None optSrdIncForRow=0 */

/******************************************/
/* Global Write Alpha Batch #0 (d1,d0,vc1,vc0) = */
/*    (0,0,0,0:vw4:vaw:2); (0,1,0,0:vw4:vaw:2); (0,2,0,0:vw4:vaw:2); (0,3,0,0:vw4:vaw:2); (0,0,1,0:vw4:vaw:2); (0,1,1,0:vw4:vaw:2) */
/******************************************/

/* calc coords, apply mask, and issue loads (if necessary) */
/* (d1,vc1,d0,vc0)=(0,0,0,0) */
_v_add_lshl_u32 v134, v131, v128, 0x1              // scaleToBpe: accumulate d0 lower and *= bpe into Cin addr
_buffer_load_b64 v[138:139], v134, s[sgprSrdD:sgprSrdD+3], 0, offen offset:0 // load D (atomic) bpm=8 vaw=2
/* (d1,vc1,d0,vc0)=(0,0,1,0) */
_v_add_co_u32 v132, vcc, v128, 64                  // coord0.1: coord0 += d0*sg0*VW + vc0
_v_add_lshl_u32 v135, v131, v132, 0x1              // scaleToBpe: accumulate d0 lower and *= bpe into Cin addr
_buffer_load_b64 v[142:143], v135, s[sgprSrdD:sgprSrdD+3], 0, offen offset:0 // load D (atomic) bpm=8 vaw=2
/* (d1,vc1,d0,vc0)=(0,0,2,0) */
s_mov_b32 s58, 128                                 // coordOffset0 d0=2 vc0=0
_v_add_co_u32 v132, vcc, v128, s58                 // coord0.2: coord0 += d0*sg0*VW + vc0
_v_add_lshl_u32 v144, v131, v132, 0x1              // scaleToBpe: accumulate d0 lower and *= bpe into Cin addr
_buffer_load_b64 v[150:151], v144, s[sgprSrdD:sgprSrdD+3], 0, offen offset:0 // load D (atomic) bpm=8 vaw=2
/* (d1,vc1,d0,vc0)=(0,0,3,0) */
s_mov_b32 s58, 192                                 // coordOffset0 d0=3 vc0=0
_v_add_co_u32 v132, vcc, v128, s58                 // coord0.2: coord0 += d0*sg0*VW + vc0
_v_add_lshl_u32 v145, v131, v132, 0x1              // scaleToBpe: accumulate d0 lower and *= bpe into Cin addr
_buffer_load_b64 v[154:155], v145, s[sgprSrdD:sgprSrdD+3], 0, offen offset:0 // load D (atomic) bpm=8 vaw=2
/* (d1,vc1,d0,vc0)=(0,1,0,0) */

/* Fix for UseInitialStridesCD, emitAddressSetupCode */
_v_add_u32 v130, v130, s[sgprStrideC1J]            // ROWINC- Move cinRowPtr to next row
_v_add_u32 v131, v131, s[sgprStrideD1J]            // Move coutRowPtr to next row
_v_add_lshl_u32 v146, v131, v128, 0x1              // scaleToBpe: accumulate d0 lower and *= bpe into Cin addr
_buffer_load_b64 v[158:159], v146, s[sgprSrdD:sgprSrdD+3], 0, offen offset:0 // load D (atomic) bpm=8 vaw=2
/* (d1,vc1,d0,vc0)=(0,1,1,0) */
_v_add_co_u32 v132, vcc, v128, 64                  // coord0.1: coord0 += d0*sg0*VW + vc0
_v_add_lshl_u32 v147, v131, v132, 0x1              // scaleToBpe: accumulate d0 lower and *= bpe into Cin addr
_buffer_load_b64 v[162:163], v147, s[sgprSrdD:sgprSrdD+3], 0, offen offset:0 // load D (atomic) bpm=8 vaw=2

/* rC *= alpha batchElements=[(0, 0, 0, 0), (0, 1, 0, 0), (0, 2, 0, 0), (0, 3, 0, 0), (0, 0, 1, 0), (0, 1, 1, 0)] */
v_pk_mul_f16 v[vgprValuC+0], s[sgprAlpha], v[vgprValuC+0] // *= alpha sumIdx=0 vi=1
v_pk_mul_f16 v[vgprValuC+1], s[sgprAlpha], v[vgprValuC+1] // *= alpha sumIdx=0 vi=3
	;; [unrolled: 1-line block ×12, first 2 shown]
s_waitcnt vmcnt(0)                                 // wait C (atomic)

/* issue first atomic writes */
v_mov_b32 v137, v138                               // v_mov for reordering loaded data
v_pk_add_f16 v136, v137, v[vgprValuC+0]            // desired value
_buffer_atomic_cmpswap_b32 v[136:137], v134, s[sgprSrdD:sgprSrdD+3] 0 offen offset:0 glc   // attempt write
v_pk_add_f16 v138, v139, v[vgprValuC+1]            // desired value
_buffer_atomic_cmpswap_b32 v[138:139], v134, s[sgprSrdD:sgprSrdD+3] 0 offen offset:4 glc   // attempt write
v_mov_b32 v141, v142                               // v_mov for reordering loaded data
v_pk_add_f16 v140, v141, v[vgprValuC+2]            // desired value
_buffer_atomic_cmpswap_b32 v[140:141], v135, s[sgprSrdD:sgprSrdD+3] 0 offen offset:0 glc   // attempt write
v_pk_add_f16 v142, v143, v[vgprValuC+3]            // desired value
_buffer_atomic_cmpswap_b32 v[142:143], v135, s[sgprSrdD:sgprSrdD+3] 0 offen offset:4 glc   // attempt write
	;; [unrolled: 5-line block ×5, first 2 shown]
v_mov_b32 v161, v162                               // v_mov for reordering loaded data
v_pk_add_f16 v160, v161, v[vgprValuC+10]           // desired value
_buffer_atomic_cmpswap_b32 v[160:161], v147, s[sgprSrdD:sgprSrdD+3] 0 offen offset:0 glc   // attempt write
v_pk_add_f16 v162, v163, v[vgprValuC+11]           // desired value
_buffer_atomic_cmpswap_b32 v[162:163], v147, s[sgprSrdD:sgprSrdD+3] 0 offen offset:4 glc   // attempt write
s_waitcnt vmcnt(0)                                 // wait for atomic writes

/* check success of writes, update masks */
v_cmp_ne_u32 s[62:63], v136, v137                  // c read during atomic != c read during prior load
v_cmp_ne_u32 s[64:65], v138, v139                  // c read during atomic != c read during prior load
	;; [unrolled: 1-line block ×12, first 2 shown]

/* or masks to check for exit */
s_mov_b64 s[58:59], 0x0                            // empty mask
s_or_b64 s[58:59], s[62:63], s[58:59]              // or to add threads
s_or_b64 s[58:59], s[64:65], s[58:59]              // or to add threads
	;; [unrolled: 1-line block ×12, first 2 shown]
s_or_saveexec_b64 s[60:61], s[58:59]               // apply combined mask
s_cbranch_execz label_0076                         // if exec is zero skip loop

/* atomic CAS loop */
label_0075:

/* apply updated masks and issue writes again */
s_mov_b64 exec, s[62:63]                           // must try again
v_mov_b32 v137, v136                               // dataV+1 = tmp (new original C)
v_pk_add_f16 v136, v137, v[vgprValuC+0]            // newC = rC + originalC
_buffer_atomic_cmpswap_b32 v[136:137], v134, s[sgprSrdD:sgprSrdD+3] 0 offen offset:0 glc   // attempt write
s_mov_b64 exec, s[64:65]                           // must try again
v_mov_b32 v139, v138                               // dataV+1 = tmp (new original C)
v_pk_add_f16 v138, v139, v[vgprValuC+1]            // newC = rC + originalC
_buffer_atomic_cmpswap_b32 v[138:139], v134, s[sgprSrdD:sgprSrdD+3] 0 offen offset:4 glc   // attempt write
s_mov_b64 exec, s[66:67]                           // must try again
v_mov_b32 v141, v140                               // dataV+1 = tmp (new original C)
v_pk_add_f16 v140, v141, v[vgprValuC+2]            // newC = rC + originalC
_buffer_atomic_cmpswap_b32 v[140:141], v135, s[sgprSrdD:sgprSrdD+3] 0 offen offset:0 glc   // attempt write
s_mov_b64 exec, s[68:69]                           // must try again
v_mov_b32 v143, v142                               // dataV+1 = tmp (new original C)
v_pk_add_f16 v142, v143, v[vgprValuC+3]            // newC = rC + originalC
_buffer_atomic_cmpswap_b32 v[142:143], v135, s[sgprSrdD:sgprSrdD+3] 0 offen offset:4 glc   // attempt write
s_mov_b64 exec, s[70:71]                           // must try again
v_mov_b32 v149, v148                               // dataV+1 = tmp (new original C)
v_pk_add_f16 v148, v149, v[vgprValuC+4]            // newC = rC + originalC
_buffer_atomic_cmpswap_b32 v[148:149], v144, s[sgprSrdD:sgprSrdD+3] 0 offen offset:0 glc   // attempt write
s_mov_b64 exec, s[72:73]                           // must try again
v_mov_b32 v151, v150                               // dataV+1 = tmp (new original C)
v_pk_add_f16 v150, v151, v[vgprValuC+5]            // newC = rC + originalC
_buffer_atomic_cmpswap_b32 v[150:151], v144, s[sgprSrdD:sgprSrdD+3] 0 offen offset:4 glc   // attempt write
s_mov_b64 exec, s[74:75]                           // must try again
v_mov_b32 v153, v152                               // dataV+1 = tmp (new original C)
v_pk_add_f16 v152, v153, v[vgprValuC+6]            // newC = rC + originalC
_buffer_atomic_cmpswap_b32 v[152:153], v145, s[sgprSrdD:sgprSrdD+3] 0 offen offset:0 glc   // attempt write
s_mov_b64 exec, s[76:77]                           // must try again
v_mov_b32 v155, v154                               // dataV+1 = tmp (new original C)
v_pk_add_f16 v154, v155, v[vgprValuC+7]            // newC = rC + originalC
_buffer_atomic_cmpswap_b32 v[154:155], v145, s[sgprSrdD:sgprSrdD+3] 0 offen offset:4 glc   // attempt write
s_mov_b64 exec, s[78:79]                           // must try again
v_mov_b32 v157, v156                               // dataV+1 = tmp (new original C)
v_pk_add_f16 v156, v157, v[vgprValuC+8]            // newC = rC + originalC
_buffer_atomic_cmpswap_b32 v[156:157], v146, s[sgprSrdD:sgprSrdD+3] 0 offen offset:0 glc   // attempt write
s_mov_b64 exec, s[80:81]                           // must try again
v_mov_b32 v159, v158                               // dataV+1 = tmp (new original C)
v_pk_add_f16 v158, v159, v[vgprValuC+9]            // newC = rC + originalC
_buffer_atomic_cmpswap_b32 v[158:159], v146, s[sgprSrdD:sgprSrdD+3] 0 offen offset:4 glc   // attempt write
s_mov_b64 exec, s[82:83]                           // must try again
v_mov_b32 v161, v160                               // dataV+1 = tmp (new original C)
v_pk_add_f16 v160, v161, v[vgprValuC+10]           // newC = rC + originalC
_buffer_atomic_cmpswap_b32 v[160:161], v147, s[sgprSrdD:sgprSrdD+3] 0 offen offset:0 glc   // attempt write
s_mov_b64 exec, s[84:85]                           // must try again
v_mov_b32 v163, v162                               // dataV+1 = tmp (new original C)
v_pk_add_f16 v162, v163, v[vgprValuC+11]           // newC = rC + originalC
_buffer_atomic_cmpswap_b32 v[162:163], v147, s[sgprSrdD:sgprSrdD+3] 0 offen offset:4 glc   // attempt write
s_waitcnt vmcnt(0)                                 // wait for atomic writes

/* apply masks and check for success */
s_mov_b64 exec, s[62:63]                           // must try again
v_cmp_ne_u32 s[58:59], v136, v137                  // c read during atomic != c read during prior load
s_and_b64 s[62:63], s[58:59], s[62:63]             // inBounds & must try again
s_mov_b64 exec, s[64:65]                           // must try again
v_cmp_ne_u32 s[58:59], v138, v139                  // c read during atomic != c read during prior load
s_and_b64 s[64:65], s[58:59], s[64:65]             // inBounds & must try again
	;; [unrolled: 3-line block ×12, first 2 shown]

/* or masks to check for exit */
s_mov_b64 s[58:59], 0x0                            // empty mask
s_or_b64 s[58:59], s[62:63], s[58:59]              // or to add threads
s_or_b64 s[58:59], s[64:65], s[58:59]              // or to add threads
	;; [unrolled: 1-line block ×12, first 2 shown]
s_or_saveexec_b64 s[60:61], s[58:59]               // apply combined mask
s_cbranch_execnz label_0075                        // try again if not complete
label_0076:
s_mov_b64 exec, -1                                 // full mask -> exec
/* optSingleColVgpr=0 optSharedColVgpr=0 optSGPRUsage=None optSrdIncForRow=0 */

/******************************************/
/* Global Write Alpha Batch #1 (d1,d0,vc1,vc0) = */
/*    (0,2,1,0:vw4:vaw:2); (0,3,1,0:vw4:vaw:2); (0,0,2,0:vw4:vaw:2); (0,1,2,0:vw4:vaw:2); (0,2,2,0:vw4:vaw:2); (0,3,2,0:vw4:vaw:2) */
/******************************************/

/* calc coords, apply mask, and issue loads (if necessary) */
/* (d1,vc1,d0,vc0)=(0,1,2,0) */
s_mov_b32 s58, 128                                 // coordOffset0 d0=2 vc0=0
_v_add_co_u32 v132, vcc, v128, s58                 // coord0.2: coord0 += d0*sg0*VW + vc0
_v_add_lshl_u32 v134, v131, v132, 0x1              // scaleToBpe: accumulate d0 lower and *= bpe into Cin addr
_buffer_load_b64 v[138:139], v134, s[sgprSrdD:sgprSrdD+3], 0, offen offset:0 // load D (atomic) bpm=8 vaw=2
/* (d1,vc1,d0,vc0)=(0,1,3,0) */
s_mov_b32 s58, 192                                 // coordOffset0 d0=3 vc0=0
_v_add_co_u32 v132, vcc, v128, s58                 // coord0.2: coord0 += d0*sg0*VW + vc0
_v_add_lshl_u32 v135, v131, v132, 0x1              // scaleToBpe: accumulate d0 lower and *= bpe into Cin addr
_buffer_load_b64 v[142:143], v135, s[sgprSrdD:sgprSrdD+3], 0, offen offset:0 // load D (atomic) bpm=8 vaw=2
/* (d1,vc1,d0,vc0)=(0,2,0,0) */

/* Fix for UseInitialStridesCD, emitAddressSetupCode */
_v_add_u32 v130, v130, s[sgprStrideC1J]            // ROWINC- Move cinRowPtr to next row
_v_add_u32 v131, v131, s[sgprStrideD1J]            // Move coutRowPtr to next row
_v_add_lshl_u32 v144, v131, v128, 0x1              // scaleToBpe: accumulate d0 lower and *= bpe into Cin addr
_buffer_load_b64 v[150:151], v144, s[sgprSrdD:sgprSrdD+3], 0, offen offset:0 // load D (atomic) bpm=8 vaw=2
/* (d1,vc1,d0,vc0)=(0,2,1,0) */
_v_add_co_u32 v132, vcc, v128, 64                  // coord0.1: coord0 += d0*sg0*VW + vc0
_v_add_lshl_u32 v145, v131, v132, 0x1              // scaleToBpe: accumulate d0 lower and *= bpe into Cin addr
_buffer_load_b64 v[154:155], v145, s[sgprSrdD:sgprSrdD+3], 0, offen offset:0 // load D (atomic) bpm=8 vaw=2
/* (d1,vc1,d0,vc0)=(0,2,2,0) */
s_mov_b32 s58, 128                                 // coordOffset0 d0=2 vc0=0
_v_add_co_u32 v132, vcc, v128, s58                 // coord0.2: coord0 += d0*sg0*VW + vc0
_v_add_lshl_u32 v146, v131, v132, 0x1              // scaleToBpe: accumulate d0 lower and *= bpe into Cin addr
_buffer_load_b64 v[158:159], v146, s[sgprSrdD:sgprSrdD+3], 0, offen offset:0 // load D (atomic) bpm=8 vaw=2
/* (d1,vc1,d0,vc0)=(0,2,3,0) */
s_mov_b32 s58, 192                                 // coordOffset0 d0=3 vc0=0
_v_add_co_u32 v132, vcc, v128, s58                 // coord0.2: coord0 += d0*sg0*VW + vc0
_v_add_lshl_u32 v147, v131, v132, 0x1              // scaleToBpe: accumulate d0 lower and *= bpe into Cin addr
_buffer_load_b64 v[162:163], v147, s[sgprSrdD:sgprSrdD+3], 0, offen offset:0 // load D (atomic) bpm=8 vaw=2

/* rC *= alpha batchElements=[(0, 2, 1, 0), (0, 3, 1, 0), (0, 0, 2, 0), (0, 1, 2, 0), (0, 2, 2, 0), (0, 3, 2, 0)] */
v_pk_mul_f16 v[vgprValuC+12], s[sgprAlpha], v[vgprValuC+12] // *= alpha sumIdx=24 vi=1
v_pk_mul_f16 v[vgprValuC+13], s[sgprAlpha], v[vgprValuC+13] // *= alpha sumIdx=24 vi=3
	;; [unrolled: 1-line block ×12, first 2 shown]
s_waitcnt vmcnt(0)                                 // wait C (atomic)

/* issue first atomic writes */
v_mov_b32 v137, v138                               // v_mov for reordering loaded data
v_pk_add_f16 v136, v137, v[vgprValuC+12]           // desired value
_buffer_atomic_cmpswap_b32 v[136:137], v134, s[sgprSrdD:sgprSrdD+3] 0 offen offset:0 glc   // attempt write
v_pk_add_f16 v138, v139, v[vgprValuC+13]           // desired value
_buffer_atomic_cmpswap_b32 v[138:139], v134, s[sgprSrdD:sgprSrdD+3] 0 offen offset:4 glc   // attempt write
v_mov_b32 v141, v142                               // v_mov for reordering loaded data
v_pk_add_f16 v140, v141, v[vgprValuC+14]           // desired value
_buffer_atomic_cmpswap_b32 v[140:141], v135, s[sgprSrdD:sgprSrdD+3] 0 offen offset:0 glc   // attempt write
v_pk_add_f16 v142, v143, v[vgprValuC+15]           // desired value
_buffer_atomic_cmpswap_b32 v[142:143], v135, s[sgprSrdD:sgprSrdD+3] 0 offen offset:4 glc   // attempt write
	;; [unrolled: 5-line block ×6, first 2 shown]
s_waitcnt vmcnt(0)                                 // wait for atomic writes

/* check success of writes, update masks */
v_cmp_ne_u32 s[62:63], v136, v137                  // c read during atomic != c read during prior load
v_cmp_ne_u32 s[64:65], v138, v139                  // c read during atomic != c read during prior load
	;; [unrolled: 1-line block ×12, first 2 shown]

/* or masks to check for exit */
s_mov_b64 s[58:59], 0x0                            // empty mask
s_or_b64 s[58:59], s[62:63], s[58:59]              // or to add threads
s_or_b64 s[58:59], s[64:65], s[58:59]              // or to add threads
	;; [unrolled: 1-line block ×12, first 2 shown]
s_or_saveexec_b64 s[60:61], s[58:59]               // apply combined mask
s_cbranch_execz label_0078                         // if exec is zero skip loop

/* atomic CAS loop */
label_0077:

/* apply updated masks and issue writes again */
s_mov_b64 exec, s[62:63]                           // must try again
v_mov_b32 v137, v136                               // dataV+1 = tmp (new original C)
v_pk_add_f16 v136, v137, v[vgprValuC+12]           // newC = rC + originalC
_buffer_atomic_cmpswap_b32 v[136:137], v134, s[sgprSrdD:sgprSrdD+3] 0 offen offset:0 glc   // attempt write
s_mov_b64 exec, s[64:65]                           // must try again
v_mov_b32 v139, v138                               // dataV+1 = tmp (new original C)
v_pk_add_f16 v138, v139, v[vgprValuC+13]           // newC = rC + originalC
_buffer_atomic_cmpswap_b32 v[138:139], v134, s[sgprSrdD:sgprSrdD+3] 0 offen offset:4 glc   // attempt write
s_mov_b64 exec, s[66:67]                           // must try again
v_mov_b32 v141, v140                               // dataV+1 = tmp (new original C)
v_pk_add_f16 v140, v141, v[vgprValuC+14]           // newC = rC + originalC
_buffer_atomic_cmpswap_b32 v[140:141], v135, s[sgprSrdD:sgprSrdD+3] 0 offen offset:0 glc   // attempt write
s_mov_b64 exec, s[68:69]                           // must try again
v_mov_b32 v143, v142                               // dataV+1 = tmp (new original C)
v_pk_add_f16 v142, v143, v[vgprValuC+15]           // newC = rC + originalC
_buffer_atomic_cmpswap_b32 v[142:143], v135, s[sgprSrdD:sgprSrdD+3] 0 offen offset:4 glc   // attempt write
s_mov_b64 exec, s[70:71]                           // must try again
v_mov_b32 v149, v148                               // dataV+1 = tmp (new original C)
v_pk_add_f16 v148, v149, v[vgprValuC+16]           // newC = rC + originalC
_buffer_atomic_cmpswap_b32 v[148:149], v144, s[sgprSrdD:sgprSrdD+3] 0 offen offset:0 glc   // attempt write
s_mov_b64 exec, s[72:73]                           // must try again
v_mov_b32 v151, v150                               // dataV+1 = tmp (new original C)
v_pk_add_f16 v150, v151, v[vgprValuC+17]           // newC = rC + originalC
_buffer_atomic_cmpswap_b32 v[150:151], v144, s[sgprSrdD:sgprSrdD+3] 0 offen offset:4 glc   // attempt write
s_mov_b64 exec, s[74:75]                           // must try again
v_mov_b32 v153, v152                               // dataV+1 = tmp (new original C)
v_pk_add_f16 v152, v153, v[vgprValuC+18]           // newC = rC + originalC
_buffer_atomic_cmpswap_b32 v[152:153], v145, s[sgprSrdD:sgprSrdD+3] 0 offen offset:0 glc   // attempt write
s_mov_b64 exec, s[76:77]                           // must try again
v_mov_b32 v155, v154                               // dataV+1 = tmp (new original C)
v_pk_add_f16 v154, v155, v[vgprValuC+19]           // newC = rC + originalC
_buffer_atomic_cmpswap_b32 v[154:155], v145, s[sgprSrdD:sgprSrdD+3] 0 offen offset:4 glc   // attempt write
s_mov_b64 exec, s[78:79]                           // must try again
v_mov_b32 v157, v156                               // dataV+1 = tmp (new original C)
v_pk_add_f16 v156, v157, v[vgprValuC+20]           // newC = rC + originalC
_buffer_atomic_cmpswap_b32 v[156:157], v146, s[sgprSrdD:sgprSrdD+3] 0 offen offset:0 glc   // attempt write
s_mov_b64 exec, s[80:81]                           // must try again
v_mov_b32 v159, v158                               // dataV+1 = tmp (new original C)
v_pk_add_f16 v158, v159, v[vgprValuC+21]           // newC = rC + originalC
_buffer_atomic_cmpswap_b32 v[158:159], v146, s[sgprSrdD:sgprSrdD+3] 0 offen offset:4 glc   // attempt write
s_mov_b64 exec, s[82:83]                           // must try again
v_mov_b32 v161, v160                               // dataV+1 = tmp (new original C)
v_pk_add_f16 v160, v161, v[vgprValuC+22]           // newC = rC + originalC
_buffer_atomic_cmpswap_b32 v[160:161], v147, s[sgprSrdD:sgprSrdD+3] 0 offen offset:0 glc   // attempt write
s_mov_b64 exec, s[84:85]                           // must try again
v_mov_b32 v163, v162                               // dataV+1 = tmp (new original C)
v_pk_add_f16 v162, v163, v[vgprValuC+23]           // newC = rC + originalC
_buffer_atomic_cmpswap_b32 v[162:163], v147, s[sgprSrdD:sgprSrdD+3] 0 offen offset:4 glc   // attempt write
s_waitcnt vmcnt(0)                                 // wait for atomic writes

/* apply masks and check for success */
s_mov_b64 exec, s[62:63]                           // must try again
v_cmp_ne_u32 s[58:59], v136, v137                  // c read during atomic != c read during prior load
s_and_b64 s[62:63], s[58:59], s[62:63]             // inBounds & must try again
s_mov_b64 exec, s[64:65]                           // must try again
v_cmp_ne_u32 s[58:59], v138, v139                  // c read during atomic != c read during prior load
s_and_b64 s[64:65], s[58:59], s[64:65]             // inBounds & must try again
	;; [unrolled: 3-line block ×12, first 2 shown]

/* or masks to check for exit */
s_mov_b64 s[58:59], 0x0                            // empty mask
s_or_b64 s[58:59], s[62:63], s[58:59]              // or to add threads
s_or_b64 s[58:59], s[64:65], s[58:59]              // or to add threads
s_or_b64 s[58:59], s[66:67], s[58:59]              // or to add threads
s_or_b64 s[58:59], s[68:69], s[58:59]              // or to add threads
s_or_b64 s[58:59], s[70:71], s[58:59]              // or to add threads
s_or_b64 s[58:59], s[72:73], s[58:59]              // or to add threads
s_or_b64 s[58:59], s[74:75], s[58:59]              // or to add threads
s_or_b64 s[58:59], s[76:77], s[58:59]              // or to add threads
s_or_b64 s[58:59], s[78:79], s[58:59]              // or to add threads
s_or_b64 s[58:59], s[80:81], s[58:59]              // or to add threads
s_or_b64 s[58:59], s[82:83], s[58:59]              // or to add threads
s_or_b64 s[58:59], s[84:85], s[58:59]              // or to add threads
s_or_saveexec_b64 s[60:61], s[58:59]               // apply combined mask
s_cbranch_execnz label_0077                        // try again if not complete
label_0078:
s_mov_b64 exec, -1                                 // full mask -> exec
/* optSingleColVgpr=0 optSharedColVgpr=0 optSGPRUsage=None optSrdIncForRow=0 */

/******************************************/
/* Global Write Alpha Batch #2 (d1,d0,vc1,vc0) = */
/*    (0,0,3,0:vw4:vaw:2); (0,1,3,0:vw4:vaw:2); (0,2,3,0:vw4:vaw:2); (0,3,3,0:vw4:vaw:2); (1,0,0,0:vw4:vaw:2); (1,1,0,0:vw4:vaw:2) */
/******************************************/

/* calc coords, apply mask, and issue loads (if necessary) */
/* (d1,vc1,d0,vc0)=(0,3,0,0) */

/* Fix for UseInitialStridesCD, emitAddressSetupCode */
_v_add_u32 v130, v130, s[sgprStrideC1J]            // ROWINC- Move cinRowPtr to next row
_v_add_u32 v131, v131, s[sgprStrideD1J]            // Move coutRowPtr to next row
_v_add_lshl_u32 v134, v131, v128, 0x1              // scaleToBpe: accumulate d0 lower and *= bpe into Cin addr
_buffer_load_b64 v[138:139], v134, s[sgprSrdD:sgprSrdD+3], 0, offen offset:0 // load D (atomic) bpm=8 vaw=2
/* (d1,vc1,d0,vc0)=(0,3,1,0) */
_v_add_co_u32 v132, vcc, v128, 64                  // coord0.1: coord0 += d0*sg0*VW + vc0
_v_add_lshl_u32 v135, v131, v132, 0x1              // scaleToBpe: accumulate d0 lower and *= bpe into Cin addr
_buffer_load_b64 v[142:143], v135, s[sgprSrdD:sgprSrdD+3], 0, offen offset:0 // load D (atomic) bpm=8 vaw=2
/* (d1,vc1,d0,vc0)=(0,3,2,0) */
s_mov_b32 s58, 128                                 // coordOffset0 d0=2 vc0=0
_v_add_co_u32 v132, vcc, v128, s58                 // coord0.2: coord0 += d0*sg0*VW + vc0
_v_add_lshl_u32 v144, v131, v132, 0x1              // scaleToBpe: accumulate d0 lower and *= bpe into Cin addr
_buffer_load_b64 v[150:151], v144, s[sgprSrdD:sgprSrdD+3], 0, offen offset:0 // load D (atomic) bpm=8 vaw=2
/* (d1,vc1,d0,vc0)=(0,3,3,0) */
s_mov_b32 s58, 192                                 // coordOffset0 d0=3 vc0=0
_v_add_co_u32 v132, vcc, v128, s58                 // coord0.2: coord0 += d0*sg0*VW + vc0
_v_add_lshl_u32 v145, v131, v132, 0x1              // scaleToBpe: accumulate d0 lower and *= bpe into Cin addr
_buffer_load_b64 v[154:155], v145, s[sgprSrdD:sgprSrdD+3], 0, offen offset:0 // load D (atomic) bpm=8 vaw=2
/* (d1,vc1,d0,vc0)=(1,0,0,0) */

/* Fix for UseInitialStridesCD, emitAddressSetupCode */
s_mul_i32 s58, s[sgprStrideC1J], 61                // scale stride
_v_add_u32 v130, v130, s58                         // ROWINC- Move cinRowPtr to next row
s_mul_i32 s58, s[sgprStrideD1J], 61                // scale stride
_v_add_u32 v131, v131, s58                         // Move coutRowPtr to next row
_v_add_lshl_u32 v146, v131, v128, 0x1              // scaleToBpe: accumulate d0 lower and *= bpe into Cin addr
_buffer_load_b64 v[158:159], v146, s[sgprSrdD:sgprSrdD+3], 0, offen offset:0 // load D (atomic) bpm=8 vaw=2
/* (d1,vc1,d0,vc0)=(1,0,1,0) */
_v_add_co_u32 v132, vcc, v128, 64                  // coord0.1: coord0 += d0*sg0*VW + vc0
_v_add_lshl_u32 v147, v131, v132, 0x1              // scaleToBpe: accumulate d0 lower and *= bpe into Cin addr
_buffer_load_b64 v[162:163], v147, s[sgprSrdD:sgprSrdD+3], 0, offen offset:0 // load D (atomic) bpm=8 vaw=2

/* rC *= alpha batchElements=[(0, 0, 3, 0), (0, 1, 3, 0), (0, 2, 3, 0), (0, 3, 3, 0), (1, 0, 0, 0), (1, 1, 0, 0)] */
v_pk_mul_f16 v[vgprValuC+24], s[sgprAlpha], v[vgprValuC+24] // *= alpha sumIdx=48 vi=1
v_pk_mul_f16 v[vgprValuC+25], s[sgprAlpha], v[vgprValuC+25] // *= alpha sumIdx=48 vi=3
	;; [unrolled: 1-line block ×12, first 2 shown]
s_waitcnt vmcnt(0)                                 // wait C (atomic)

/* issue first atomic writes */
v_mov_b32 v137, v138                               // v_mov for reordering loaded data
v_pk_add_f16 v136, v137, v[vgprValuC+24]           // desired value
_buffer_atomic_cmpswap_b32 v[136:137], v134, s[sgprSrdD:sgprSrdD+3] 0 offen offset:0 glc   // attempt write
v_pk_add_f16 v138, v139, v[vgprValuC+25]           // desired value
_buffer_atomic_cmpswap_b32 v[138:139], v134, s[sgprSrdD:sgprSrdD+3] 0 offen offset:4 glc   // attempt write
v_mov_b32 v141, v142                               // v_mov for reordering loaded data
v_pk_add_f16 v140, v141, v[vgprValuC+26]           // desired value
_buffer_atomic_cmpswap_b32 v[140:141], v135, s[sgprSrdD:sgprSrdD+3] 0 offen offset:0 glc   // attempt write
v_pk_add_f16 v142, v143, v[vgprValuC+27]           // desired value
_buffer_atomic_cmpswap_b32 v[142:143], v135, s[sgprSrdD:sgprSrdD+3] 0 offen offset:4 glc   // attempt write
	;; [unrolled: 5-line block ×6, first 2 shown]
s_waitcnt vmcnt(0)                                 // wait for atomic writes

/* check success of writes, update masks */
v_cmp_ne_u32 s[62:63], v136, v137                  // c read during atomic != c read during prior load
v_cmp_ne_u32 s[64:65], v138, v139                  // c read during atomic != c read during prior load
	;; [unrolled: 1-line block ×12, first 2 shown]

/* or masks to check for exit */
s_mov_b64 s[58:59], 0x0                            // empty mask
s_or_b64 s[58:59], s[62:63], s[58:59]              // or to add threads
s_or_b64 s[58:59], s[64:65], s[58:59]              // or to add threads
	;; [unrolled: 1-line block ×12, first 2 shown]
s_or_saveexec_b64 s[60:61], s[58:59]               // apply combined mask
s_cbranch_execz label_0080                         // if exec is zero skip loop

/* atomic CAS loop */
label_0079:

/* apply updated masks and issue writes again */
s_mov_b64 exec, s[62:63]                           // must try again
v_mov_b32 v137, v136                               // dataV+1 = tmp (new original C)
v_pk_add_f16 v136, v137, v[vgprValuC+24]           // newC = rC + originalC
_buffer_atomic_cmpswap_b32 v[136:137], v134, s[sgprSrdD:sgprSrdD+3] 0 offen offset:0 glc   // attempt write
s_mov_b64 exec, s[64:65]                           // must try again
v_mov_b32 v139, v138                               // dataV+1 = tmp (new original C)
v_pk_add_f16 v138, v139, v[vgprValuC+25]           // newC = rC + originalC
_buffer_atomic_cmpswap_b32 v[138:139], v134, s[sgprSrdD:sgprSrdD+3] 0 offen offset:4 glc   // attempt write
s_mov_b64 exec, s[66:67]                           // must try again
v_mov_b32 v141, v140                               // dataV+1 = tmp (new original C)
v_pk_add_f16 v140, v141, v[vgprValuC+26]           // newC = rC + originalC
_buffer_atomic_cmpswap_b32 v[140:141], v135, s[sgprSrdD:sgprSrdD+3] 0 offen offset:0 glc   // attempt write
s_mov_b64 exec, s[68:69]                           // must try again
v_mov_b32 v143, v142                               // dataV+1 = tmp (new original C)
v_pk_add_f16 v142, v143, v[vgprValuC+27]           // newC = rC + originalC
_buffer_atomic_cmpswap_b32 v[142:143], v135, s[sgprSrdD:sgprSrdD+3] 0 offen offset:4 glc   // attempt write
s_mov_b64 exec, s[70:71]                           // must try again
v_mov_b32 v149, v148                               // dataV+1 = tmp (new original C)
v_pk_add_f16 v148, v149, v[vgprValuC+28]           // newC = rC + originalC
_buffer_atomic_cmpswap_b32 v[148:149], v144, s[sgprSrdD:sgprSrdD+3] 0 offen offset:0 glc   // attempt write
s_mov_b64 exec, s[72:73]                           // must try again
v_mov_b32 v151, v150                               // dataV+1 = tmp (new original C)
v_pk_add_f16 v150, v151, v[vgprValuC+29]           // newC = rC + originalC
_buffer_atomic_cmpswap_b32 v[150:151], v144, s[sgprSrdD:sgprSrdD+3] 0 offen offset:4 glc   // attempt write
s_mov_b64 exec, s[74:75]                           // must try again
v_mov_b32 v153, v152                               // dataV+1 = tmp (new original C)
v_pk_add_f16 v152, v153, v[vgprValuC+30]           // newC = rC + originalC
_buffer_atomic_cmpswap_b32 v[152:153], v145, s[sgprSrdD:sgprSrdD+3] 0 offen offset:0 glc   // attempt write
s_mov_b64 exec, s[76:77]                           // must try again
v_mov_b32 v155, v154                               // dataV+1 = tmp (new original C)
v_pk_add_f16 v154, v155, v[vgprValuC+31]           // newC = rC + originalC
_buffer_atomic_cmpswap_b32 v[154:155], v145, s[sgprSrdD:sgprSrdD+3] 0 offen offset:4 glc   // attempt write
s_mov_b64 exec, s[78:79]                           // must try again
v_mov_b32 v157, v156                               // dataV+1 = tmp (new original C)
v_pk_add_f16 v156, v157, v[vgprValuC+32]           // newC = rC + originalC
_buffer_atomic_cmpswap_b32 v[156:157], v146, s[sgprSrdD:sgprSrdD+3] 0 offen offset:0 glc   // attempt write
s_mov_b64 exec, s[80:81]                           // must try again
v_mov_b32 v159, v158                               // dataV+1 = tmp (new original C)
v_pk_add_f16 v158, v159, v[vgprValuC+33]           // newC = rC + originalC
_buffer_atomic_cmpswap_b32 v[158:159], v146, s[sgprSrdD:sgprSrdD+3] 0 offen offset:4 glc   // attempt write
s_mov_b64 exec, s[82:83]                           // must try again
v_mov_b32 v161, v160                               // dataV+1 = tmp (new original C)
v_pk_add_f16 v160, v161, v[vgprValuC+34]           // newC = rC + originalC
_buffer_atomic_cmpswap_b32 v[160:161], v147, s[sgprSrdD:sgprSrdD+3] 0 offen offset:0 glc   // attempt write
s_mov_b64 exec, s[84:85]                           // must try again
v_mov_b32 v163, v162                               // dataV+1 = tmp (new original C)
v_pk_add_f16 v162, v163, v[vgprValuC+35]           // newC = rC + originalC
_buffer_atomic_cmpswap_b32 v[162:163], v147, s[sgprSrdD:sgprSrdD+3] 0 offen offset:4 glc   // attempt write
s_waitcnt vmcnt(0)                                 // wait for atomic writes

/* apply masks and check for success */
s_mov_b64 exec, s[62:63]                           // must try again
v_cmp_ne_u32 s[58:59], v136, v137                  // c read during atomic != c read during prior load
s_and_b64 s[62:63], s[58:59], s[62:63]             // inBounds & must try again
s_mov_b64 exec, s[64:65]                           // must try again
v_cmp_ne_u32 s[58:59], v138, v139                  // c read during atomic != c read during prior load
s_and_b64 s[64:65], s[58:59], s[64:65]             // inBounds & must try again
	;; [unrolled: 3-line block ×12, first 2 shown]

/* or masks to check for exit */
s_mov_b64 s[58:59], 0x0                            // empty mask
s_or_b64 s[58:59], s[62:63], s[58:59]              // or to add threads
s_or_b64 s[58:59], s[64:65], s[58:59]              // or to add threads
	;; [unrolled: 1-line block ×12, first 2 shown]
s_or_saveexec_b64 s[60:61], s[58:59]               // apply combined mask
s_cbranch_execnz label_0079                        // try again if not complete
label_0080:
s_mov_b64 exec, -1                                 // full mask -> exec
/* optSingleColVgpr=0 optSharedColVgpr=0 optSGPRUsage=None optSrdIncForRow=0 */

/******************************************/
/* Global Write Alpha Batch #3 (d1,d0,vc1,vc0) = */
/*    (1,2,0,0:vw4:vaw:2); (1,3,0,0:vw4:vaw:2); (1,0,1,0:vw4:vaw:2); (1,1,1,0:vw4:vaw:2); (1,2,1,0:vw4:vaw:2); (1,3,1,0:vw4:vaw:2) */
/******************************************/

/* calc coords, apply mask, and issue loads (if necessary) */
/* (d1,vc1,d0,vc0)=(1,0,2,0) */
s_mov_b32 s58, 128                                 // coordOffset0 d0=2 vc0=0
_v_add_co_u32 v132, vcc, v128, s58                 // coord0.2: coord0 += d0*sg0*VW + vc0
_v_add_lshl_u32 v134, v131, v132, 0x1              // scaleToBpe: accumulate d0 lower and *= bpe into Cin addr
_buffer_load_b64 v[138:139], v134, s[sgprSrdD:sgprSrdD+3], 0, offen offset:0 // load D (atomic) bpm=8 vaw=2
/* (d1,vc1,d0,vc0)=(1,0,3,0) */
s_mov_b32 s58, 192                                 // coordOffset0 d0=3 vc0=0
_v_add_co_u32 v132, vcc, v128, s58                 // coord0.2: coord0 += d0*sg0*VW + vc0
_v_add_lshl_u32 v135, v131, v132, 0x1              // scaleToBpe: accumulate d0 lower and *= bpe into Cin addr
_buffer_load_b64 v[142:143], v135, s[sgprSrdD:sgprSrdD+3], 0, offen offset:0 // load D (atomic) bpm=8 vaw=2
/* (d1,vc1,d0,vc0)=(1,1,0,0) */

/* Fix for UseInitialStridesCD, emitAddressSetupCode */
_v_add_u32 v130, v130, s[sgprStrideC1J]            // ROWINC- Move cinRowPtr to next row
_v_add_u32 v131, v131, s[sgprStrideD1J]            // Move coutRowPtr to next row
_v_add_lshl_u32 v144, v131, v128, 0x1              // scaleToBpe: accumulate d0 lower and *= bpe into Cin addr
_buffer_load_b64 v[150:151], v144, s[sgprSrdD:sgprSrdD+3], 0, offen offset:0 // load D (atomic) bpm=8 vaw=2
/* (d1,vc1,d0,vc0)=(1,1,1,0) */
_v_add_co_u32 v132, vcc, v128, 64                  // coord0.1: coord0 += d0*sg0*VW + vc0
_v_add_lshl_u32 v145, v131, v132, 0x1              // scaleToBpe: accumulate d0 lower and *= bpe into Cin addr
_buffer_load_b64 v[154:155], v145, s[sgprSrdD:sgprSrdD+3], 0, offen offset:0 // load D (atomic) bpm=8 vaw=2
/* (d1,vc1,d0,vc0)=(1,1,2,0) */
s_mov_b32 s58, 128                                 // coordOffset0 d0=2 vc0=0
_v_add_co_u32 v132, vcc, v128, s58                 // coord0.2: coord0 += d0*sg0*VW + vc0
_v_add_lshl_u32 v146, v131, v132, 0x1              // scaleToBpe: accumulate d0 lower and *= bpe into Cin addr
_buffer_load_b64 v[158:159], v146, s[sgprSrdD:sgprSrdD+3], 0, offen offset:0 // load D (atomic) bpm=8 vaw=2
/* (d1,vc1,d0,vc0)=(1,1,3,0) */
s_mov_b32 s58, 192                                 // coordOffset0 d0=3 vc0=0
_v_add_co_u32 v132, vcc, v128, s58                 // coord0.2: coord0 += d0*sg0*VW + vc0
_v_add_lshl_u32 v147, v131, v132, 0x1              // scaleToBpe: accumulate d0 lower and *= bpe into Cin addr
_buffer_load_b64 v[162:163], v147, s[sgprSrdD:sgprSrdD+3], 0, offen offset:0 // load D (atomic) bpm=8 vaw=2

/* rC *= alpha batchElements=[(1, 2, 0, 0), (1, 3, 0, 0), (1, 0, 1, 0), (1, 1, 1, 0), (1, 2, 1, 0), (1, 3, 1, 0)] */
v_pk_mul_f16 v[vgprValuC+36], s[sgprAlpha], v[vgprValuC+36] // *= alpha sumIdx=72 vi=1
v_pk_mul_f16 v[vgprValuC+37], s[sgprAlpha], v[vgprValuC+37] // *= alpha sumIdx=72 vi=3
	;; [unrolled: 1-line block ×12, first 2 shown]
s_waitcnt vmcnt(0)                                 // wait C (atomic)

/* issue first atomic writes */
v_mov_b32 v137, v138                               // v_mov for reordering loaded data
v_pk_add_f16 v136, v137, v[vgprValuC+36]           // desired value
_buffer_atomic_cmpswap_b32 v[136:137], v134, s[sgprSrdD:sgprSrdD+3] 0 offen offset:0 glc   // attempt write
v_pk_add_f16 v138, v139, v[vgprValuC+37]           // desired value
_buffer_atomic_cmpswap_b32 v[138:139], v134, s[sgprSrdD:sgprSrdD+3] 0 offen offset:4 glc   // attempt write
v_mov_b32 v141, v142                               // v_mov for reordering loaded data
v_pk_add_f16 v140, v141, v[vgprValuC+38]           // desired value
_buffer_atomic_cmpswap_b32 v[140:141], v135, s[sgprSrdD:sgprSrdD+3] 0 offen offset:0 glc   // attempt write
v_pk_add_f16 v142, v143, v[vgprValuC+39]           // desired value
_buffer_atomic_cmpswap_b32 v[142:143], v135, s[sgprSrdD:sgprSrdD+3] 0 offen offset:4 glc   // attempt write
	;; [unrolled: 5-line block ×6, first 2 shown]
s_waitcnt vmcnt(0)                                 // wait for atomic writes

/* check success of writes, update masks */
v_cmp_ne_u32 s[62:63], v136, v137                  // c read during atomic != c read during prior load
v_cmp_ne_u32 s[64:65], v138, v139                  // c read during atomic != c read during prior load
	;; [unrolled: 1-line block ×12, first 2 shown]

/* or masks to check for exit */
s_mov_b64 s[58:59], 0x0                            // empty mask
s_or_b64 s[58:59], s[62:63], s[58:59]              // or to add threads
s_or_b64 s[58:59], s[64:65], s[58:59]              // or to add threads
	;; [unrolled: 1-line block ×12, first 2 shown]
s_or_saveexec_b64 s[60:61], s[58:59]               // apply combined mask
s_cbranch_execz label_0082                         // if exec is zero skip loop

/* atomic CAS loop */
label_0081:

/* apply updated masks and issue writes again */
s_mov_b64 exec, s[62:63]                           // must try again
v_mov_b32 v137, v136                               // dataV+1 = tmp (new original C)
v_pk_add_f16 v136, v137, v[vgprValuC+36]           // newC = rC + originalC
_buffer_atomic_cmpswap_b32 v[136:137], v134, s[sgprSrdD:sgprSrdD+3] 0 offen offset:0 glc   // attempt write
s_mov_b64 exec, s[64:65]                           // must try again
v_mov_b32 v139, v138                               // dataV+1 = tmp (new original C)
v_pk_add_f16 v138, v139, v[vgprValuC+37]           // newC = rC + originalC
_buffer_atomic_cmpswap_b32 v[138:139], v134, s[sgprSrdD:sgprSrdD+3] 0 offen offset:4 glc   // attempt write
	;; [unrolled: 4-line block ×12, first 2 shown]
s_waitcnt vmcnt(0)                                 // wait for atomic writes

/* apply masks and check for success */
s_mov_b64 exec, s[62:63]                           // must try again
v_cmp_ne_u32 s[58:59], v136, v137                  // c read during atomic != c read during prior load
s_and_b64 s[62:63], s[58:59], s[62:63]             // inBounds & must try again
s_mov_b64 exec, s[64:65]                           // must try again
v_cmp_ne_u32 s[58:59], v138, v139                  // c read during atomic != c read during prior load
s_and_b64 s[64:65], s[58:59], s[64:65]             // inBounds & must try again
	;; [unrolled: 3-line block ×12, first 2 shown]

/* or masks to check for exit */
s_mov_b64 s[58:59], 0x0                            // empty mask
s_or_b64 s[58:59], s[62:63], s[58:59]              // or to add threads
s_or_b64 s[58:59], s[64:65], s[58:59]              // or to add threads
	;; [unrolled: 1-line block ×12, first 2 shown]
s_or_saveexec_b64 s[60:61], s[58:59]               // apply combined mask
s_cbranch_execnz label_0081                        // try again if not complete
label_0082:
s_mov_b64 exec, -1                                 // full mask -> exec
/* optSingleColVgpr=0 optSharedColVgpr=0 optSGPRUsage=None optSrdIncForRow=0 */

/******************************************/
/* Global Write Alpha Batch #4 (d1,d0,vc1,vc0) = */
/*    (1,0,2,0:vw4:vaw:2); (1,1,2,0:vw4:vaw:2); (1,2,2,0:vw4:vaw:2); (1,3,2,0:vw4:vaw:2); (1,0,3,0:vw4:vaw:2); (1,1,3,0:vw4:vaw:2) */
/******************************************/

/* calc coords, apply mask, and issue loads (if necessary) */
/* (d1,vc1,d0,vc0)=(1,2,0,0) */

/* Fix for UseInitialStridesCD, emitAddressSetupCode */
_v_add_u32 v130, v130, s[sgprStrideC1J]            // ROWINC- Move cinRowPtr to next row
_v_add_u32 v131, v131, s[sgprStrideD1J]            // Move coutRowPtr to next row
_v_add_lshl_u32 v134, v131, v128, 0x1              // scaleToBpe: accumulate d0 lower and *= bpe into Cin addr
_buffer_load_b64 v[138:139], v134, s[sgprSrdD:sgprSrdD+3], 0, offen offset:0 // load D (atomic) bpm=8 vaw=2
/* (d1,vc1,d0,vc0)=(1,2,1,0) */
_v_add_co_u32 v132, vcc, v128, 64                  // coord0.1: coord0 += d0*sg0*VW + vc0
_v_add_lshl_u32 v135, v131, v132, 0x1              // scaleToBpe: accumulate d0 lower and *= bpe into Cin addr
_buffer_load_b64 v[142:143], v135, s[sgprSrdD:sgprSrdD+3], 0, offen offset:0 // load D (atomic) bpm=8 vaw=2
/* (d1,vc1,d0,vc0)=(1,2,2,0) */
s_mov_b32 s58, 128                                 // coordOffset0 d0=2 vc0=0
_v_add_co_u32 v132, vcc, v128, s58                 // coord0.2: coord0 += d0*sg0*VW + vc0
_v_add_lshl_u32 v144, v131, v132, 0x1              // scaleToBpe: accumulate d0 lower and *= bpe into Cin addr
_buffer_load_b64 v[150:151], v144, s[sgprSrdD:sgprSrdD+3], 0, offen offset:0 // load D (atomic) bpm=8 vaw=2
/* (d1,vc1,d0,vc0)=(1,2,3,0) */
s_mov_b32 s58, 192                                 // coordOffset0 d0=3 vc0=0
_v_add_co_u32 v132, vcc, v128, s58                 // coord0.2: coord0 += d0*sg0*VW + vc0
_v_add_lshl_u32 v145, v131, v132, 0x1              // scaleToBpe: accumulate d0 lower and *= bpe into Cin addr
_buffer_load_b64 v[154:155], v145, s[sgprSrdD:sgprSrdD+3], 0, offen offset:0 // load D (atomic) bpm=8 vaw=2
/* (d1,vc1,d0,vc0)=(1,3,0,0) */

/* Fix for UseInitialStridesCD, emitAddressSetupCode */
_v_add_u32 v130, v130, s[sgprStrideC1J]            // ROWINC- Move cinRowPtr to next row
_v_add_u32 v131, v131, s[sgprStrideD1J]            // Move coutRowPtr to next row
_v_add_lshl_u32 v146, v131, v128, 0x1              // scaleToBpe: accumulate d0 lower and *= bpe into Cin addr
_buffer_load_b64 v[158:159], v146, s[sgprSrdD:sgprSrdD+3], 0, offen offset:0 // load D (atomic) bpm=8 vaw=2
/* (d1,vc1,d0,vc0)=(1,3,1,0) */
_v_add_co_u32 v132, vcc, v128, 64                  // coord0.1: coord0 += d0*sg0*VW + vc0
_v_add_lshl_u32 v147, v131, v132, 0x1              // scaleToBpe: accumulate d0 lower and *= bpe into Cin addr
_buffer_load_b64 v[162:163], v147, s[sgprSrdD:sgprSrdD+3], 0, offen offset:0 // load D (atomic) bpm=8 vaw=2

/* rC *= alpha batchElements=[(1, 0, 2, 0), (1, 1, 2, 0), (1, 2, 2, 0), (1, 3, 2, 0), (1, 0, 3, 0), (1, 1, 3, 0)] */
v_pk_mul_f16 v[vgprValuC+48], s[sgprAlpha], v[vgprValuC+48] // *= alpha sumIdx=96 vi=1
v_pk_mul_f16 v[vgprValuC+49], s[sgprAlpha], v[vgprValuC+49] // *= alpha sumIdx=96 vi=3
	;; [unrolled: 1-line block ×12, first 2 shown]
s_waitcnt vmcnt(0)                                 // wait C (atomic)

/* issue first atomic writes */
v_mov_b32 v137, v138                               // v_mov for reordering loaded data
v_pk_add_f16 v136, v137, v[vgprValuC+48]           // desired value
_buffer_atomic_cmpswap_b32 v[136:137], v134, s[sgprSrdD:sgprSrdD+3] 0 offen offset:0 glc   // attempt write
v_pk_add_f16 v138, v139, v[vgprValuC+49]           // desired value
_buffer_atomic_cmpswap_b32 v[138:139], v134, s[sgprSrdD:sgprSrdD+3] 0 offen offset:4 glc   // attempt write
v_mov_b32 v141, v142                               // v_mov for reordering loaded data
v_pk_add_f16 v140, v141, v[vgprValuC+50]           // desired value
_buffer_atomic_cmpswap_b32 v[140:141], v135, s[sgprSrdD:sgprSrdD+3] 0 offen offset:0 glc   // attempt write
v_pk_add_f16 v142, v143, v[vgprValuC+51]           // desired value
_buffer_atomic_cmpswap_b32 v[142:143], v135, s[sgprSrdD:sgprSrdD+3] 0 offen offset:4 glc   // attempt write
	;; [unrolled: 5-line block ×6, first 2 shown]
s_waitcnt vmcnt(0)                                 // wait for atomic writes

/* check success of writes, update masks */
v_cmp_ne_u32 s[62:63], v136, v137                  // c read during atomic != c read during prior load
v_cmp_ne_u32 s[64:65], v138, v139                  // c read during atomic != c read during prior load
	;; [unrolled: 1-line block ×12, first 2 shown]

/* or masks to check for exit */
s_mov_b64 s[58:59], 0x0                            // empty mask
s_or_b64 s[58:59], s[62:63], s[58:59]              // or to add threads
s_or_b64 s[58:59], s[64:65], s[58:59]              // or to add threads
	;; [unrolled: 1-line block ×12, first 2 shown]
s_or_saveexec_b64 s[60:61], s[58:59]               // apply combined mask
s_cbranch_execz label_0084                         // if exec is zero skip loop

/* atomic CAS loop */
label_0083:

/* apply updated masks and issue writes again */
s_mov_b64 exec, s[62:63]                           // must try again
v_mov_b32 v137, v136                               // dataV+1 = tmp (new original C)
v_pk_add_f16 v136, v137, v[vgprValuC+48]           // newC = rC + originalC
_buffer_atomic_cmpswap_b32 v[136:137], v134, s[sgprSrdD:sgprSrdD+3] 0 offen offset:0 glc   // attempt write
s_mov_b64 exec, s[64:65]                           // must try again
v_mov_b32 v139, v138                               // dataV+1 = tmp (new original C)
v_pk_add_f16 v138, v139, v[vgprValuC+49]           // newC = rC + originalC
_buffer_atomic_cmpswap_b32 v[138:139], v134, s[sgprSrdD:sgprSrdD+3] 0 offen offset:4 glc   // attempt write
	;; [unrolled: 4-line block ×12, first 2 shown]
s_waitcnt vmcnt(0)                                 // wait for atomic writes

/* apply masks and check for success */
s_mov_b64 exec, s[62:63]                           // must try again
v_cmp_ne_u32 s[58:59], v136, v137                  // c read during atomic != c read during prior load
s_and_b64 s[62:63], s[58:59], s[62:63]             // inBounds & must try again
s_mov_b64 exec, s[64:65]                           // must try again
v_cmp_ne_u32 s[58:59], v138, v139                  // c read during atomic != c read during prior load
s_and_b64 s[64:65], s[58:59], s[64:65]             // inBounds & must try again
	;; [unrolled: 3-line block ×12, first 2 shown]

/* or masks to check for exit */
s_mov_b64 s[58:59], 0x0                            // empty mask
s_or_b64 s[58:59], s[62:63], s[58:59]              // or to add threads
s_or_b64 s[58:59], s[64:65], s[58:59]              // or to add threads
	;; [unrolled: 1-line block ×12, first 2 shown]
s_or_saveexec_b64 s[60:61], s[58:59]               // apply combined mask
s_cbranch_execnz label_0083                        // try again if not complete
label_0084:
s_mov_b64 exec, -1                                 // full mask -> exec
/* optSingleColVgpr=0 optSharedColVgpr=0 optSGPRUsage=None optSrdIncForRow=0 */

/******************************************/
/* Global Write Alpha Batch #5 (d1,d0,vc1,vc0) = */
/*    (1,2,3,0:vw4:vaw:2); (1,3,3,0:vw4:vaw:2); (2,0,0,0:vw4:vaw:2); (2,1,0,0:vw4:vaw:2); (2,2,0,0:vw4:vaw:2); (2,3,0,0:vw4:vaw:2) */
/******************************************/

/* calc coords, apply mask, and issue loads (if necessary) */
/* (d1,vc1,d0,vc0)=(1,3,2,0) */
s_mov_b32 s58, 128                                 // coordOffset0 d0=2 vc0=0
_v_add_co_u32 v132, vcc, v128, s58                 // coord0.2: coord0 += d0*sg0*VW + vc0
_v_add_lshl_u32 v134, v131, v132, 0x1              // scaleToBpe: accumulate d0 lower and *= bpe into Cin addr
_buffer_load_b64 v[138:139], v134, s[sgprSrdD:sgprSrdD+3], 0, offen offset:0 // load D (atomic) bpm=8 vaw=2
/* (d1,vc1,d0,vc0)=(1,3,3,0) */
s_mov_b32 s58, 192                                 // coordOffset0 d0=3 vc0=0
_v_add_co_u32 v132, vcc, v128, s58                 // coord0.2: coord0 += d0*sg0*VW + vc0
_v_add_lshl_u32 v135, v131, v132, 0x1              // scaleToBpe: accumulate d0 lower and *= bpe into Cin addr
_buffer_load_b64 v[142:143], v135, s[sgprSrdD:sgprSrdD+3], 0, offen offset:0 // load D (atomic) bpm=8 vaw=2
/* (d1,vc1,d0,vc0)=(2,0,0,0) */

/* Fix for UseInitialStridesCD, emitAddressSetupCode */
s_mul_i32 s58, s[sgprStrideC1J], 61                // scale stride
_v_add_u32 v130, v130, s58                         // ROWINC- Move cinRowPtr to next row
s_mul_i32 s58, s[sgprStrideD1J], 61                // scale stride
_v_add_u32 v131, v131, s58                         // Move coutRowPtr to next row
_v_add_lshl_u32 v144, v131, v128, 0x1              // scaleToBpe: accumulate d0 lower and *= bpe into Cin addr
_buffer_load_b64 v[150:151], v144, s[sgprSrdD:sgprSrdD+3], 0, offen offset:0 // load D (atomic) bpm=8 vaw=2
/* (d1,vc1,d0,vc0)=(2,0,1,0) */
_v_add_co_u32 v132, vcc, v128, 64                  // coord0.1: coord0 += d0*sg0*VW + vc0
_v_add_lshl_u32 v145, v131, v132, 0x1              // scaleToBpe: accumulate d0 lower and *= bpe into Cin addr
_buffer_load_b64 v[154:155], v145, s[sgprSrdD:sgprSrdD+3], 0, offen offset:0 // load D (atomic) bpm=8 vaw=2
/* (d1,vc1,d0,vc0)=(2,0,2,0) */
s_mov_b32 s58, 128                                 // coordOffset0 d0=2 vc0=0
_v_add_co_u32 v132, vcc, v128, s58                 // coord0.2: coord0 += d0*sg0*VW + vc0
_v_add_lshl_u32 v146, v131, v132, 0x1              // scaleToBpe: accumulate d0 lower and *= bpe into Cin addr
_buffer_load_b64 v[158:159], v146, s[sgprSrdD:sgprSrdD+3], 0, offen offset:0 // load D (atomic) bpm=8 vaw=2
/* (d1,vc1,d0,vc0)=(2,0,3,0) */
s_mov_b32 s58, 192                                 // coordOffset0 d0=3 vc0=0
_v_add_co_u32 v132, vcc, v128, s58                 // coord0.2: coord0 += d0*sg0*VW + vc0
_v_add_lshl_u32 v147, v131, v132, 0x1              // scaleToBpe: accumulate d0 lower and *= bpe into Cin addr
_buffer_load_b64 v[162:163], v147, s[sgprSrdD:sgprSrdD+3], 0, offen offset:0 // load D (atomic) bpm=8 vaw=2

/* rC *= alpha batchElements=[(1, 2, 3, 0), (1, 3, 3, 0), (2, 0, 0, 0), (2, 1, 0, 0), (2, 2, 0, 0), (2, 3, 0, 0)] */
v_pk_mul_f16 v[vgprValuC+60], s[sgprAlpha], v[vgprValuC+60] // *= alpha sumIdx=120 vi=1
v_pk_mul_f16 v[vgprValuC+61], s[sgprAlpha], v[vgprValuC+61] // *= alpha sumIdx=120 vi=3
	;; [unrolled: 1-line block ×12, first 2 shown]
s_waitcnt vmcnt(0)                                 // wait C (atomic)

/* issue first atomic writes */
v_mov_b32 v137, v138                               // v_mov for reordering loaded data
v_pk_add_f16 v136, v137, v[vgprValuC+60]           // desired value
_buffer_atomic_cmpswap_b32 v[136:137], v134, s[sgprSrdD:sgprSrdD+3] 0 offen offset:0 glc   // attempt write
v_pk_add_f16 v138, v139, v[vgprValuC+61]           // desired value
_buffer_atomic_cmpswap_b32 v[138:139], v134, s[sgprSrdD:sgprSrdD+3] 0 offen offset:4 glc   // attempt write
v_mov_b32 v141, v142                               // v_mov for reordering loaded data
v_pk_add_f16 v140, v141, v[vgprValuC+62]           // desired value
_buffer_atomic_cmpswap_b32 v[140:141], v135, s[sgprSrdD:sgprSrdD+3] 0 offen offset:0 glc   // attempt write
v_pk_add_f16 v142, v143, v[vgprValuC+63]           // desired value
_buffer_atomic_cmpswap_b32 v[142:143], v135, s[sgprSrdD:sgprSrdD+3] 0 offen offset:4 glc   // attempt write
	;; [unrolled: 5-line block ×6, first 2 shown]
s_waitcnt vmcnt(0)                                 // wait for atomic writes

/* check success of writes, update masks */
v_cmp_ne_u32 s[62:63], v136, v137                  // c read during atomic != c read during prior load
v_cmp_ne_u32 s[64:65], v138, v139                  // c read during atomic != c read during prior load
	;; [unrolled: 1-line block ×12, first 2 shown]

/* or masks to check for exit */
s_mov_b64 s[58:59], 0x0                            // empty mask
s_or_b64 s[58:59], s[62:63], s[58:59]              // or to add threads
s_or_b64 s[58:59], s[64:65], s[58:59]              // or to add threads
	;; [unrolled: 1-line block ×12, first 2 shown]
s_or_saveexec_b64 s[60:61], s[58:59]               // apply combined mask
s_cbranch_execz label_0086                         // if exec is zero skip loop

/* atomic CAS loop */
label_0085:

/* apply updated masks and issue writes again */
s_mov_b64 exec, s[62:63]                           // must try again
v_mov_b32 v137, v136                               // dataV+1 = tmp (new original C)
v_pk_add_f16 v136, v137, v[vgprValuC+60]           // newC = rC + originalC
_buffer_atomic_cmpswap_b32 v[136:137], v134, s[sgprSrdD:sgprSrdD+3] 0 offen offset:0 glc   // attempt write
s_mov_b64 exec, s[64:65]                           // must try again
v_mov_b32 v139, v138                               // dataV+1 = tmp (new original C)
v_pk_add_f16 v138, v139, v[vgprValuC+61]           // newC = rC + originalC
_buffer_atomic_cmpswap_b32 v[138:139], v134, s[sgprSrdD:sgprSrdD+3] 0 offen offset:4 glc   // attempt write
	;; [unrolled: 4-line block ×12, first 2 shown]
s_waitcnt vmcnt(0)                                 // wait for atomic writes

/* apply masks and check for success */
s_mov_b64 exec, s[62:63]                           // must try again
v_cmp_ne_u32 s[58:59], v136, v137                  // c read during atomic != c read during prior load
s_and_b64 s[62:63], s[58:59], s[62:63]             // inBounds & must try again
s_mov_b64 exec, s[64:65]                           // must try again
v_cmp_ne_u32 s[58:59], v138, v139                  // c read during atomic != c read during prior load
s_and_b64 s[64:65], s[58:59], s[64:65]             // inBounds & must try again
	;; [unrolled: 3-line block ×12, first 2 shown]

/* or masks to check for exit */
s_mov_b64 s[58:59], 0x0                            // empty mask
s_or_b64 s[58:59], s[62:63], s[58:59]              // or to add threads
s_or_b64 s[58:59], s[64:65], s[58:59]              // or to add threads
	;; [unrolled: 1-line block ×12, first 2 shown]
s_or_saveexec_b64 s[60:61], s[58:59]               // apply combined mask
s_cbranch_execnz label_0085                        // try again if not complete
label_0086:
s_mov_b64 exec, -1                                 // full mask -> exec
/* optSingleColVgpr=0 optSharedColVgpr=0 optSGPRUsage=None optSrdIncForRow=0 */

/******************************************/
/* Global Write Alpha Batch #6 (d1,d0,vc1,vc0) = */
/*    (2,0,1,0:vw4:vaw:2); (2,1,1,0:vw4:vaw:2); (2,2,1,0:vw4:vaw:2); (2,3,1,0:vw4:vaw:2); (2,0,2,0:vw4:vaw:2); (2,1,2,0:vw4:vaw:2) */
/******************************************/

/* calc coords, apply mask, and issue loads (if necessary) */
/* (d1,vc1,d0,vc0)=(2,1,0,0) */

/* Fix for UseInitialStridesCD, emitAddressSetupCode */
_v_add_u32 v130, v130, s[sgprStrideC1J]            // ROWINC- Move cinRowPtr to next row
_v_add_u32 v131, v131, s[sgprStrideD1J]            // Move coutRowPtr to next row
_v_add_lshl_u32 v134, v131, v128, 0x1              // scaleToBpe: accumulate d0 lower and *= bpe into Cin addr
_buffer_load_b64 v[138:139], v134, s[sgprSrdD:sgprSrdD+3], 0, offen offset:0 // load D (atomic) bpm=8 vaw=2
/* (d1,vc1,d0,vc0)=(2,1,1,0) */
_v_add_co_u32 v132, vcc, v128, 64                  // coord0.1: coord0 += d0*sg0*VW + vc0
_v_add_lshl_u32 v135, v131, v132, 0x1              // scaleToBpe: accumulate d0 lower and *= bpe into Cin addr
_buffer_load_b64 v[142:143], v135, s[sgprSrdD:sgprSrdD+3], 0, offen offset:0 // load D (atomic) bpm=8 vaw=2
/* (d1,vc1,d0,vc0)=(2,1,2,0) */
s_mov_b32 s58, 128                                 // coordOffset0 d0=2 vc0=0
_v_add_co_u32 v132, vcc, v128, s58                 // coord0.2: coord0 += d0*sg0*VW + vc0
_v_add_lshl_u32 v144, v131, v132, 0x1              // scaleToBpe: accumulate d0 lower and *= bpe into Cin addr
_buffer_load_b64 v[150:151], v144, s[sgprSrdD:sgprSrdD+3], 0, offen offset:0 // load D (atomic) bpm=8 vaw=2
/* (d1,vc1,d0,vc0)=(2,1,3,0) */
s_mov_b32 s58, 192                                 // coordOffset0 d0=3 vc0=0
_v_add_co_u32 v132, vcc, v128, s58                 // coord0.2: coord0 += d0*sg0*VW + vc0
_v_add_lshl_u32 v145, v131, v132, 0x1              // scaleToBpe: accumulate d0 lower and *= bpe into Cin addr
_buffer_load_b64 v[154:155], v145, s[sgprSrdD:sgprSrdD+3], 0, offen offset:0 // load D (atomic) bpm=8 vaw=2
/* (d1,vc1,d0,vc0)=(2,2,0,0) */

/* Fix for UseInitialStridesCD, emitAddressSetupCode */
_v_add_u32 v130, v130, s[sgprStrideC1J]            // ROWINC- Move cinRowPtr to next row
_v_add_u32 v131, v131, s[sgprStrideD1J]            // Move coutRowPtr to next row
_v_add_lshl_u32 v146, v131, v128, 0x1              // scaleToBpe: accumulate d0 lower and *= bpe into Cin addr
_buffer_load_b64 v[158:159], v146, s[sgprSrdD:sgprSrdD+3], 0, offen offset:0 // load D (atomic) bpm=8 vaw=2
/* (d1,vc1,d0,vc0)=(2,2,1,0) */
_v_add_co_u32 v132, vcc, v128, 64                  // coord0.1: coord0 += d0*sg0*VW + vc0
_v_add_lshl_u32 v147, v131, v132, 0x1              // scaleToBpe: accumulate d0 lower and *= bpe into Cin addr
_buffer_load_b64 v[162:163], v147, s[sgprSrdD:sgprSrdD+3], 0, offen offset:0 // load D (atomic) bpm=8 vaw=2

/* rC *= alpha batchElements=[(2, 0, 1, 0), (2, 1, 1, 0), (2, 2, 1, 0), (2, 3, 1, 0), (2, 0, 2, 0), (2, 1, 2, 0)] */
v_pk_mul_f16 v[vgprValuC+72], s[sgprAlpha], v[vgprValuC+72] // *= alpha sumIdx=144 vi=1
v_pk_mul_f16 v[vgprValuC+73], s[sgprAlpha], v[vgprValuC+73] // *= alpha sumIdx=144 vi=3
	;; [unrolled: 1-line block ×12, first 2 shown]
s_waitcnt vmcnt(0)                                 // wait C (atomic)

/* issue first atomic writes */
v_mov_b32 v137, v138                               // v_mov for reordering loaded data
v_pk_add_f16 v136, v137, v[vgprValuC+72]           // desired value
_buffer_atomic_cmpswap_b32 v[136:137], v134, s[sgprSrdD:sgprSrdD+3] 0 offen offset:0 glc   // attempt write
v_pk_add_f16 v138, v139, v[vgprValuC+73]           // desired value
_buffer_atomic_cmpswap_b32 v[138:139], v134, s[sgprSrdD:sgprSrdD+3] 0 offen offset:4 glc   // attempt write
v_mov_b32 v141, v142                               // v_mov for reordering loaded data
v_pk_add_f16 v140, v141, v[vgprValuC+74]           // desired value
_buffer_atomic_cmpswap_b32 v[140:141], v135, s[sgprSrdD:sgprSrdD+3] 0 offen offset:0 glc   // attempt write
v_pk_add_f16 v142, v143, v[vgprValuC+75]           // desired value
_buffer_atomic_cmpswap_b32 v[142:143], v135, s[sgprSrdD:sgprSrdD+3] 0 offen offset:4 glc   // attempt write
v_mov_b32 v149, v150                               // v_mov for reordering loaded data
v_pk_add_f16 v148, v149, v[vgprValuC+76]           // desired value
_buffer_atomic_cmpswap_b32 v[148:149], v144, s[sgprSrdD:sgprSrdD+3] 0 offen offset:0 glc   // attempt write
v_pk_add_f16 v150, v151, v[vgprValuC+77]           // desired value
_buffer_atomic_cmpswap_b32 v[150:151], v144, s[sgprSrdD:sgprSrdD+3] 0 offen offset:4 glc   // attempt write
v_mov_b32 v153, v154                               // v_mov for reordering loaded data
v_pk_add_f16 v152, v153, v[vgprValuC+78]           // desired value
_buffer_atomic_cmpswap_b32 v[152:153], v145, s[sgprSrdD:sgprSrdD+3] 0 offen offset:0 glc   // attempt write
v_pk_add_f16 v154, v155, v[vgprValuC+79]           // desired value
_buffer_atomic_cmpswap_b32 v[154:155], v145, s[sgprSrdD:sgprSrdD+3] 0 offen offset:4 glc   // attempt write
v_mov_b32 v157, v158                               // v_mov for reordering loaded data
v_pk_add_f16 v156, v157, v[vgprValuC+80]           // desired value
_buffer_atomic_cmpswap_b32 v[156:157], v146, s[sgprSrdD:sgprSrdD+3] 0 offen offset:0 glc   // attempt write
v_pk_add_f16 v158, v159, v[vgprValuC+81]           // desired value
_buffer_atomic_cmpswap_b32 v[158:159], v146, s[sgprSrdD:sgprSrdD+3] 0 offen offset:4 glc   // attempt write
v_mov_b32 v161, v162                               // v_mov for reordering loaded data
v_pk_add_f16 v160, v161, v[vgprValuC+82]           // desired value
_buffer_atomic_cmpswap_b32 v[160:161], v147, s[sgprSrdD:sgprSrdD+3] 0 offen offset:0 glc   // attempt write
v_pk_add_f16 v162, v163, v[vgprValuC+83]           // desired value
_buffer_atomic_cmpswap_b32 v[162:163], v147, s[sgprSrdD:sgprSrdD+3] 0 offen offset:4 glc   // attempt write
s_waitcnt vmcnt(0)                                 // wait for atomic writes

/* check success of writes, update masks */
v_cmp_ne_u32 s[62:63], v136, v137                  // c read during atomic != c read during prior load
v_cmp_ne_u32 s[64:65], v138, v139                  // c read during atomic != c read during prior load
	;; [unrolled: 1-line block ×12, first 2 shown]

/* or masks to check for exit */
s_mov_b64 s[58:59], 0x0                            // empty mask
s_or_b64 s[58:59], s[62:63], s[58:59]              // or to add threads
s_or_b64 s[58:59], s[64:65], s[58:59]              // or to add threads
	;; [unrolled: 1-line block ×12, first 2 shown]
s_or_saveexec_b64 s[60:61], s[58:59]               // apply combined mask
s_cbranch_execz label_0088                         // if exec is zero skip loop

/* atomic CAS loop */
label_0087:

/* apply updated masks and issue writes again */
s_mov_b64 exec, s[62:63]                           // must try again
v_mov_b32 v137, v136                               // dataV+1 = tmp (new original C)
v_pk_add_f16 v136, v137, v[vgprValuC+72]           // newC = rC + originalC
_buffer_atomic_cmpswap_b32 v[136:137], v134, s[sgprSrdD:sgprSrdD+3] 0 offen offset:0 glc   // attempt write
s_mov_b64 exec, s[64:65]                           // must try again
v_mov_b32 v139, v138                               // dataV+1 = tmp (new original C)
v_pk_add_f16 v138, v139, v[vgprValuC+73]           // newC = rC + originalC
_buffer_atomic_cmpswap_b32 v[138:139], v134, s[sgprSrdD:sgprSrdD+3] 0 offen offset:4 glc   // attempt write
s_mov_b64 exec, s[66:67]                           // must try again
v_mov_b32 v141, v140                               // dataV+1 = tmp (new original C)
v_pk_add_f16 v140, v141, v[vgprValuC+74]           // newC = rC + originalC
_buffer_atomic_cmpswap_b32 v[140:141], v135, s[sgprSrdD:sgprSrdD+3] 0 offen offset:0 glc   // attempt write
s_mov_b64 exec, s[68:69]                           // must try again
v_mov_b32 v143, v142                               // dataV+1 = tmp (new original C)
v_pk_add_f16 v142, v143, v[vgprValuC+75]           // newC = rC + originalC
_buffer_atomic_cmpswap_b32 v[142:143], v135, s[sgprSrdD:sgprSrdD+3] 0 offen offset:4 glc   // attempt write
s_mov_b64 exec, s[70:71]                           // must try again
v_mov_b32 v149, v148                               // dataV+1 = tmp (new original C)
v_pk_add_f16 v148, v149, v[vgprValuC+76]           // newC = rC + originalC
_buffer_atomic_cmpswap_b32 v[148:149], v144, s[sgprSrdD:sgprSrdD+3] 0 offen offset:0 glc   // attempt write
s_mov_b64 exec, s[72:73]                           // must try again
v_mov_b32 v151, v150                               // dataV+1 = tmp (new original C)
v_pk_add_f16 v150, v151, v[vgprValuC+77]           // newC = rC + originalC
_buffer_atomic_cmpswap_b32 v[150:151], v144, s[sgprSrdD:sgprSrdD+3] 0 offen offset:4 glc   // attempt write
s_mov_b64 exec, s[74:75]                           // must try again
v_mov_b32 v153, v152                               // dataV+1 = tmp (new original C)
v_pk_add_f16 v152, v153, v[vgprValuC+78]           // newC = rC + originalC
_buffer_atomic_cmpswap_b32 v[152:153], v145, s[sgprSrdD:sgprSrdD+3] 0 offen offset:0 glc   // attempt write
s_mov_b64 exec, s[76:77]                           // must try again
v_mov_b32 v155, v154                               // dataV+1 = tmp (new original C)
v_pk_add_f16 v154, v155, v[vgprValuC+79]           // newC = rC + originalC
_buffer_atomic_cmpswap_b32 v[154:155], v145, s[sgprSrdD:sgprSrdD+3] 0 offen offset:4 glc   // attempt write
s_mov_b64 exec, s[78:79]                           // must try again
v_mov_b32 v157, v156                               // dataV+1 = tmp (new original C)
v_pk_add_f16 v156, v157, v[vgprValuC+80]           // newC = rC + originalC
_buffer_atomic_cmpswap_b32 v[156:157], v146, s[sgprSrdD:sgprSrdD+3] 0 offen offset:0 glc   // attempt write
s_mov_b64 exec, s[80:81]                           // must try again
v_mov_b32 v159, v158                               // dataV+1 = tmp (new original C)
v_pk_add_f16 v158, v159, v[vgprValuC+81]           // newC = rC + originalC
_buffer_atomic_cmpswap_b32 v[158:159], v146, s[sgprSrdD:sgprSrdD+3] 0 offen offset:4 glc   // attempt write
s_mov_b64 exec, s[82:83]                           // must try again
v_mov_b32 v161, v160                               // dataV+1 = tmp (new original C)
v_pk_add_f16 v160, v161, v[vgprValuC+82]           // newC = rC + originalC
_buffer_atomic_cmpswap_b32 v[160:161], v147, s[sgprSrdD:sgprSrdD+3] 0 offen offset:0 glc   // attempt write
s_mov_b64 exec, s[84:85]                           // must try again
v_mov_b32 v163, v162                               // dataV+1 = tmp (new original C)
v_pk_add_f16 v162, v163, v[vgprValuC+83]           // newC = rC + originalC
_buffer_atomic_cmpswap_b32 v[162:163], v147, s[sgprSrdD:sgprSrdD+3] 0 offen offset:4 glc   // attempt write
s_waitcnt vmcnt(0)                                 // wait for atomic writes

/* apply masks and check for success */
s_mov_b64 exec, s[62:63]                           // must try again
v_cmp_ne_u32 s[58:59], v136, v137                  // c read during atomic != c read during prior load
s_and_b64 s[62:63], s[58:59], s[62:63]             // inBounds & must try again
s_mov_b64 exec, s[64:65]                           // must try again
v_cmp_ne_u32 s[58:59], v138, v139                  // c read during atomic != c read during prior load
s_and_b64 s[64:65], s[58:59], s[64:65]             // inBounds & must try again
	;; [unrolled: 3-line block ×12, first 2 shown]

/* or masks to check for exit */
s_mov_b64 s[58:59], 0x0                            // empty mask
s_or_b64 s[58:59], s[62:63], s[58:59]              // or to add threads
s_or_b64 s[58:59], s[64:65], s[58:59]              // or to add threads
	;; [unrolled: 1-line block ×12, first 2 shown]
s_or_saveexec_b64 s[60:61], s[58:59]               // apply combined mask
s_cbranch_execnz label_0087                        // try again if not complete
label_0088:
s_mov_b64 exec, -1                                 // full mask -> exec
/* optSingleColVgpr=0 optSharedColVgpr=0 optSGPRUsage=None optSrdIncForRow=0 */

/******************************************/
/* Global Write Alpha Batch #7 (d1,d0,vc1,vc0) = */
/*    (2,2,2,0:vw4:vaw:2); (2,3,2,0:vw4:vaw:2); (2,0,3,0:vw4:vaw:2); (2,1,3,0:vw4:vaw:2); (2,2,3,0:vw4:vaw:2); (2,3,3,0:vw4:vaw:2) */
/******************************************/

/* calc coords, apply mask, and issue loads (if necessary) */
/* (d1,vc1,d0,vc0)=(2,2,2,0) */
s_mov_b32 s58, 128                                 // coordOffset0 d0=2 vc0=0
_v_add_co_u32 v132, vcc, v128, s58                 // coord0.2: coord0 += d0*sg0*VW + vc0
_v_add_lshl_u32 v134, v131, v132, 0x1              // scaleToBpe: accumulate d0 lower and *= bpe into Cin addr
_buffer_load_b64 v[138:139], v134, s[sgprSrdD:sgprSrdD+3], 0, offen offset:0 // load D (atomic) bpm=8 vaw=2
/* (d1,vc1,d0,vc0)=(2,2,3,0) */
s_mov_b32 s58, 192                                 // coordOffset0 d0=3 vc0=0
_v_add_co_u32 v132, vcc, v128, s58                 // coord0.2: coord0 += d0*sg0*VW + vc0
_v_add_lshl_u32 v135, v131, v132, 0x1              // scaleToBpe: accumulate d0 lower and *= bpe into Cin addr
_buffer_load_b64 v[142:143], v135, s[sgprSrdD:sgprSrdD+3], 0, offen offset:0 // load D (atomic) bpm=8 vaw=2
/* (d1,vc1,d0,vc0)=(2,3,0,0) */

/* Fix for UseInitialStridesCD, emitAddressSetupCode */
_v_add_u32 v130, v130, s[sgprStrideC1J]            // ROWINC- Move cinRowPtr to next row
_v_add_u32 v131, v131, s[sgprStrideD1J]            // Move coutRowPtr to next row
_v_add_lshl_u32 v144, v131, v128, 0x1              // scaleToBpe: accumulate d0 lower and *= bpe into Cin addr
_buffer_load_b64 v[150:151], v144, s[sgprSrdD:sgprSrdD+3], 0, offen offset:0 // load D (atomic) bpm=8 vaw=2
/* (d1,vc1,d0,vc0)=(2,3,1,0) */
_v_add_co_u32 v132, vcc, v128, 64                  // coord0.1: coord0 += d0*sg0*VW + vc0
_v_add_lshl_u32 v145, v131, v132, 0x1              // scaleToBpe: accumulate d0 lower and *= bpe into Cin addr
_buffer_load_b64 v[154:155], v145, s[sgprSrdD:sgprSrdD+3], 0, offen offset:0 // load D (atomic) bpm=8 vaw=2
/* (d1,vc1,d0,vc0)=(2,3,2,0) */
s_mov_b32 s58, 128                                 // coordOffset0 d0=2 vc0=0
_v_add_co_u32 v132, vcc, v128, s58                 // coord0.2: coord0 += d0*sg0*VW + vc0
_v_add_lshl_u32 v146, v131, v132, 0x1              // scaleToBpe: accumulate d0 lower and *= bpe into Cin addr
_buffer_load_b64 v[158:159], v146, s[sgprSrdD:sgprSrdD+3], 0, offen offset:0 // load D (atomic) bpm=8 vaw=2
/* (d1,vc1,d0,vc0)=(2,3,3,0) */
s_mov_b32 s58, 192                                 // coordOffset0 d0=3 vc0=0
_v_add_co_u32 v132, vcc, v128, s58                 // coord0.2: coord0 += d0*sg0*VW + vc0
_v_add_lshl_u32 v147, v131, v132, 0x1              // scaleToBpe: accumulate d0 lower and *= bpe into Cin addr
_buffer_load_b64 v[162:163], v147, s[sgprSrdD:sgprSrdD+3], 0, offen offset:0 // load D (atomic) bpm=8 vaw=2

/* rC *= alpha batchElements=[(2, 2, 2, 0), (2, 3, 2, 0), (2, 0, 3, 0), (2, 1, 3, 0), (2, 2, 3, 0), (2, 3, 3, 0)] */
v_pk_mul_f16 v[vgprValuC+84], s[sgprAlpha], v[vgprValuC+84] // *= alpha sumIdx=168 vi=1
v_pk_mul_f16 v[vgprValuC+85], s[sgprAlpha], v[vgprValuC+85] // *= alpha sumIdx=168 vi=3
	;; [unrolled: 1-line block ×12, first 2 shown]
s_waitcnt vmcnt(0)                                 // wait C (atomic)

/* issue first atomic writes */
v_mov_b32 v137, v138                               // v_mov for reordering loaded data
v_pk_add_f16 v136, v137, v[vgprValuC+84]           // desired value
_buffer_atomic_cmpswap_b32 v[136:137], v134, s[sgprSrdD:sgprSrdD+3] 0 offen offset:0 glc   // attempt write
v_pk_add_f16 v138, v139, v[vgprValuC+85]           // desired value
_buffer_atomic_cmpswap_b32 v[138:139], v134, s[sgprSrdD:sgprSrdD+3] 0 offen offset:4 glc   // attempt write
v_mov_b32 v141, v142                               // v_mov for reordering loaded data
v_pk_add_f16 v140, v141, v[vgprValuC+86]           // desired value
_buffer_atomic_cmpswap_b32 v[140:141], v135, s[sgprSrdD:sgprSrdD+3] 0 offen offset:0 glc   // attempt write
v_pk_add_f16 v142, v143, v[vgprValuC+87]           // desired value
_buffer_atomic_cmpswap_b32 v[142:143], v135, s[sgprSrdD:sgprSrdD+3] 0 offen offset:4 glc   // attempt write
v_mov_b32 v149, v150                               // v_mov for reordering loaded data
v_pk_add_f16 v148, v149, v[vgprValuC+88]           // desired value
_buffer_atomic_cmpswap_b32 v[148:149], v144, s[sgprSrdD:sgprSrdD+3] 0 offen offset:0 glc   // attempt write
v_pk_add_f16 v150, v151, v[vgprValuC+89]           // desired value
_buffer_atomic_cmpswap_b32 v[150:151], v144, s[sgprSrdD:sgprSrdD+3] 0 offen offset:4 glc   // attempt write
v_mov_b32 v153, v154                               // v_mov for reordering loaded data
v_pk_add_f16 v152, v153, v[vgprValuC+90]           // desired value
_buffer_atomic_cmpswap_b32 v[152:153], v145, s[sgprSrdD:sgprSrdD+3] 0 offen offset:0 glc   // attempt write
v_pk_add_f16 v154, v155, v[vgprValuC+91]           // desired value
_buffer_atomic_cmpswap_b32 v[154:155], v145, s[sgprSrdD:sgprSrdD+3] 0 offen offset:4 glc   // attempt write
v_mov_b32 v157, v158                               // v_mov for reordering loaded data
v_pk_add_f16 v156, v157, v[vgprValuC+92]           // desired value
_buffer_atomic_cmpswap_b32 v[156:157], v146, s[sgprSrdD:sgprSrdD+3] 0 offen offset:0 glc   // attempt write
v_pk_add_f16 v158, v159, v[vgprValuC+93]           // desired value
_buffer_atomic_cmpswap_b32 v[158:159], v146, s[sgprSrdD:sgprSrdD+3] 0 offen offset:4 glc   // attempt write
v_mov_b32 v161, v162                               // v_mov for reordering loaded data
v_pk_add_f16 v160, v161, v[vgprValuC+94]           // desired value
_buffer_atomic_cmpswap_b32 v[160:161], v147, s[sgprSrdD:sgprSrdD+3] 0 offen offset:0 glc   // attempt write
v_pk_add_f16 v162, v163, v[vgprValuC+95]           // desired value
_buffer_atomic_cmpswap_b32 v[162:163], v147, s[sgprSrdD:sgprSrdD+3] 0 offen offset:4 glc   // attempt write
s_waitcnt vmcnt(0)                                 // wait for atomic writes

/* check success of writes, update masks */
v_cmp_ne_u32 s[62:63], v136, v137                  // c read during atomic != c read during prior load
v_cmp_ne_u32 s[64:65], v138, v139                  // c read during atomic != c read during prior load
	;; [unrolled: 1-line block ×12, first 2 shown]

/* or masks to check for exit */
s_mov_b64 s[58:59], 0x0                            // empty mask
s_or_b64 s[58:59], s[62:63], s[58:59]              // or to add threads
s_or_b64 s[58:59], s[64:65], s[58:59]              // or to add threads
	;; [unrolled: 1-line block ×12, first 2 shown]
s_or_saveexec_b64 s[60:61], s[58:59]               // apply combined mask
s_cbranch_execz label_0090                         // if exec is zero skip loop

/* atomic CAS loop */
label_0089:

/* apply updated masks and issue writes again */
s_mov_b64 exec, s[62:63]                           // must try again
v_mov_b32 v137, v136                               // dataV+1 = tmp (new original C)
v_pk_add_f16 v136, v137, v[vgprValuC+84]           // newC = rC + originalC
_buffer_atomic_cmpswap_b32 v[136:137], v134, s[sgprSrdD:sgprSrdD+3] 0 offen offset:0 glc   // attempt write
s_mov_b64 exec, s[64:65]                           // must try again
v_mov_b32 v139, v138                               // dataV+1 = tmp (new original C)
v_pk_add_f16 v138, v139, v[vgprValuC+85]           // newC = rC + originalC
_buffer_atomic_cmpswap_b32 v[138:139], v134, s[sgprSrdD:sgprSrdD+3] 0 offen offset:4 glc   // attempt write
	;; [unrolled: 4-line block ×12, first 2 shown]
s_waitcnt vmcnt(0)                                 // wait for atomic writes

/* apply masks and check for success */
s_mov_b64 exec, s[62:63]                           // must try again
v_cmp_ne_u32 s[58:59], v136, v137                  // c read during atomic != c read during prior load
s_and_b64 s[62:63], s[58:59], s[62:63]             // inBounds & must try again
s_mov_b64 exec, s[64:65]                           // must try again
v_cmp_ne_u32 s[58:59], v138, v139                  // c read during atomic != c read during prior load
s_and_b64 s[64:65], s[58:59], s[64:65]             // inBounds & must try again
	;; [unrolled: 3-line block ×12, first 2 shown]

/* or masks to check for exit */
s_mov_b64 s[58:59], 0x0                            // empty mask
s_or_b64 s[58:59], s[62:63], s[58:59]              // or to add threads
s_or_b64 s[58:59], s[64:65], s[58:59]              // or to add threads
	;; [unrolled: 1-line block ×12, first 2 shown]
s_or_saveexec_b64 s[60:61], s[58:59]               // apply combined mask
s_cbranch_execnz label_0089                        // try again if not complete
label_0090:
s_mov_b64 exec, -1                                 // full mask -> exec
/* optSingleColVgpr=0 optSharedColVgpr=0 optSGPRUsage=None optSrdIncForRow=0 */

/******************************************/
/* Global Write Alpha Batch #8 (d1,d0,vc1,vc0) = */
/*    (3,0,0,0:vw4:vaw:2); (3,1,0,0:vw4:vaw:2); (3,2,0,0:vw4:vaw:2); (3,3,0,0:vw4:vaw:2); (3,0,1,0:vw4:vaw:2); (3,1,1,0:vw4:vaw:2) */
/******************************************/

/* calc coords, apply mask, and issue loads (if necessary) */
/* (d1,vc1,d0,vc0)=(3,0,0,0) */

/* Fix for UseInitialStridesCD, emitAddressSetupCode */
s_mul_i32 s58, s[sgprStrideC1J], 61                // scale stride
_v_add_u32 v130, v130, s58                         // ROWINC- Move cinRowPtr to next row
s_mul_i32 s58, s[sgprStrideD1J], 61                // scale stride
_v_add_u32 v131, v131, s58                         // Move coutRowPtr to next row
_v_add_lshl_u32 v134, v131, v128, 0x1              // scaleToBpe: accumulate d0 lower and *= bpe into Cin addr
_buffer_load_b64 v[138:139], v134, s[sgprSrdD:sgprSrdD+3], 0, offen offset:0 // load D (atomic) bpm=8 vaw=2
/* (d1,vc1,d0,vc0)=(3,0,1,0) */
_v_add_co_u32 v132, vcc, v128, 64                  // coord0.1: coord0 += d0*sg0*VW + vc0
_v_add_lshl_u32 v135, v131, v132, 0x1              // scaleToBpe: accumulate d0 lower and *= bpe into Cin addr
_buffer_load_b64 v[142:143], v135, s[sgprSrdD:sgprSrdD+3], 0, offen offset:0 // load D (atomic) bpm=8 vaw=2
/* (d1,vc1,d0,vc0)=(3,0,2,0) */
s_mov_b32 s58, 128                                 // coordOffset0 d0=2 vc0=0
_v_add_co_u32 v132, vcc, v128, s58                 // coord0.2: coord0 += d0*sg0*VW + vc0
_v_add_lshl_u32 v144, v131, v132, 0x1              // scaleToBpe: accumulate d0 lower and *= bpe into Cin addr
_buffer_load_b64 v[150:151], v144, s[sgprSrdD:sgprSrdD+3], 0, offen offset:0 // load D (atomic) bpm=8 vaw=2
/* (d1,vc1,d0,vc0)=(3,0,3,0) */
s_mov_b32 s58, 192                                 // coordOffset0 d0=3 vc0=0
_v_add_co_u32 v132, vcc, v128, s58                 // coord0.2: coord0 += d0*sg0*VW + vc0
_v_add_lshl_u32 v145, v131, v132, 0x1              // scaleToBpe: accumulate d0 lower and *= bpe into Cin addr
_buffer_load_b64 v[154:155], v145, s[sgprSrdD:sgprSrdD+3], 0, offen offset:0 // load D (atomic) bpm=8 vaw=2
/* (d1,vc1,d0,vc0)=(3,1,0,0) */

/* Fix for UseInitialStridesCD, emitAddressSetupCode */
_v_add_u32 v130, v130, s[sgprStrideC1J]            // ROWINC- Move cinRowPtr to next row
_v_add_u32 v131, v131, s[sgprStrideD1J]            // Move coutRowPtr to next row
_v_add_lshl_u32 v146, v131, v128, 0x1              // scaleToBpe: accumulate d0 lower and *= bpe into Cin addr
_buffer_load_b64 v[158:159], v146, s[sgprSrdD:sgprSrdD+3], 0, offen offset:0 // load D (atomic) bpm=8 vaw=2
/* (d1,vc1,d0,vc0)=(3,1,1,0) */
_v_add_co_u32 v132, vcc, v128, 64                  // coord0.1: coord0 += d0*sg0*VW + vc0
_v_add_lshl_u32 v147, v131, v132, 0x1              // scaleToBpe: accumulate d0 lower and *= bpe into Cin addr
_buffer_load_b64 v[162:163], v147, s[sgprSrdD:sgprSrdD+3], 0, offen offset:0 // load D (atomic) bpm=8 vaw=2

/* rC *= alpha batchElements=[(3, 0, 0, 0), (3, 1, 0, 0), (3, 2, 0, 0), (3, 3, 0, 0), (3, 0, 1, 0), (3, 1, 1, 0)] */
v_pk_mul_f16 v[vgprValuC+96], s[sgprAlpha], v[vgprValuC+96] // *= alpha sumIdx=192 vi=1
v_pk_mul_f16 v[vgprValuC+97], s[sgprAlpha], v[vgprValuC+97] // *= alpha sumIdx=192 vi=3
	;; [unrolled: 1-line block ×12, first 2 shown]
s_waitcnt vmcnt(0)                                 // wait C (atomic)

/* issue first atomic writes */
v_mov_b32 v137, v138                               // v_mov for reordering loaded data
v_pk_add_f16 v136, v137, v[vgprValuC+96]           // desired value
_buffer_atomic_cmpswap_b32 v[136:137], v134, s[sgprSrdD:sgprSrdD+3] 0 offen offset:0 glc   // attempt write
v_pk_add_f16 v138, v139, v[vgprValuC+97]           // desired value
_buffer_atomic_cmpswap_b32 v[138:139], v134, s[sgprSrdD:sgprSrdD+3] 0 offen offset:4 glc   // attempt write
v_mov_b32 v141, v142                               // v_mov for reordering loaded data
v_pk_add_f16 v140, v141, v[vgprValuC+98]           // desired value
_buffer_atomic_cmpswap_b32 v[140:141], v135, s[sgprSrdD:sgprSrdD+3] 0 offen offset:0 glc   // attempt write
v_pk_add_f16 v142, v143, v[vgprValuC+99]           // desired value
_buffer_atomic_cmpswap_b32 v[142:143], v135, s[sgprSrdD:sgprSrdD+3] 0 offen offset:4 glc   // attempt write
v_mov_b32 v149, v150                               // v_mov for reordering loaded data
v_pk_add_f16 v148, v149, v[vgprValuC+100]          // desired value
_buffer_atomic_cmpswap_b32 v[148:149], v144, s[sgprSrdD:sgprSrdD+3] 0 offen offset:0 glc   // attempt write
v_pk_add_f16 v150, v151, v[vgprValuC+101]          // desired value
_buffer_atomic_cmpswap_b32 v[150:151], v144, s[sgprSrdD:sgprSrdD+3] 0 offen offset:4 glc   // attempt write
v_mov_b32 v153, v154                               // v_mov for reordering loaded data
v_pk_add_f16 v152, v153, v[vgprValuC+102]          // desired value
_buffer_atomic_cmpswap_b32 v[152:153], v145, s[sgprSrdD:sgprSrdD+3] 0 offen offset:0 glc   // attempt write
v_pk_add_f16 v154, v155, v[vgprValuC+103]          // desired value
	;; [unrolled: 5-line block ×4, first 2 shown]
_buffer_atomic_cmpswap_b32 v[162:163], v147, s[sgprSrdD:sgprSrdD+3] 0 offen offset:4 glc   // attempt write
s_waitcnt vmcnt(0)                                 // wait for atomic writes

/* check success of writes, update masks */
v_cmp_ne_u32 s[62:63], v136, v137                  // c read during atomic != c read during prior load
v_cmp_ne_u32 s[64:65], v138, v139                  // c read during atomic != c read during prior load
	;; [unrolled: 1-line block ×12, first 2 shown]

/* or masks to check for exit */
s_mov_b64 s[58:59], 0x0                            // empty mask
s_or_b64 s[58:59], s[62:63], s[58:59]              // or to add threads
s_or_b64 s[58:59], s[64:65], s[58:59]              // or to add threads
	;; [unrolled: 1-line block ×12, first 2 shown]
s_or_saveexec_b64 s[60:61], s[58:59]               // apply combined mask
s_cbranch_execz label_0092                         // if exec is zero skip loop

/* atomic CAS loop */
label_0091:

/* apply updated masks and issue writes again */
s_mov_b64 exec, s[62:63]                           // must try again
v_mov_b32 v137, v136                               // dataV+1 = tmp (new original C)
v_pk_add_f16 v136, v137, v[vgprValuC+96]           // newC = rC + originalC
_buffer_atomic_cmpswap_b32 v[136:137], v134, s[sgprSrdD:sgprSrdD+3] 0 offen offset:0 glc   // attempt write
s_mov_b64 exec, s[64:65]                           // must try again
v_mov_b32 v139, v138                               // dataV+1 = tmp (new original C)
v_pk_add_f16 v138, v139, v[vgprValuC+97]           // newC = rC + originalC
_buffer_atomic_cmpswap_b32 v[138:139], v134, s[sgprSrdD:sgprSrdD+3] 0 offen offset:4 glc   // attempt write
	;; [unrolled: 4-line block ×4, first 2 shown]
s_mov_b64 exec, s[70:71]                           // must try again
v_mov_b32 v149, v148                               // dataV+1 = tmp (new original C)
v_pk_add_f16 v148, v149, v[vgprValuC+100]          // newC = rC + originalC
_buffer_atomic_cmpswap_b32 v[148:149], v144, s[sgprSrdD:sgprSrdD+3] 0 offen offset:0 glc   // attempt write
s_mov_b64 exec, s[72:73]                           // must try again
v_mov_b32 v151, v150                               // dataV+1 = tmp (new original C)
v_pk_add_f16 v150, v151, v[vgprValuC+101]          // newC = rC + originalC
_buffer_atomic_cmpswap_b32 v[150:151], v144, s[sgprSrdD:sgprSrdD+3] 0 offen offset:4 glc   // attempt write
	;; [unrolled: 4-line block ×8, first 2 shown]
s_waitcnt vmcnt(0)                                 // wait for atomic writes

/* apply masks and check for success */
s_mov_b64 exec, s[62:63]                           // must try again
v_cmp_ne_u32 s[58:59], v136, v137                  // c read during atomic != c read during prior load
s_and_b64 s[62:63], s[58:59], s[62:63]             // inBounds & must try again
s_mov_b64 exec, s[64:65]                           // must try again
v_cmp_ne_u32 s[58:59], v138, v139                  // c read during atomic != c read during prior load
s_and_b64 s[64:65], s[58:59], s[64:65]             // inBounds & must try again
	;; [unrolled: 3-line block ×12, first 2 shown]

/* or masks to check for exit */
s_mov_b64 s[58:59], 0x0                            // empty mask
s_or_b64 s[58:59], s[62:63], s[58:59]              // or to add threads
s_or_b64 s[58:59], s[64:65], s[58:59]              // or to add threads
	;; [unrolled: 1-line block ×12, first 2 shown]
s_or_saveexec_b64 s[60:61], s[58:59]               // apply combined mask
s_cbranch_execnz label_0091                        // try again if not complete
label_0092:
s_mov_b64 exec, -1                                 // full mask -> exec
/* optSingleColVgpr=0 optSharedColVgpr=0 optSGPRUsage=None optSrdIncForRow=0 */

/******************************************/
/* Global Write Alpha Batch #9 (d1,d0,vc1,vc0) = */
/*    (3,2,1,0:vw4:vaw:2); (3,3,1,0:vw4:vaw:2); (3,0,2,0:vw4:vaw:2); (3,1,2,0:vw4:vaw:2); (3,2,2,0:vw4:vaw:2); (3,3,2,0:vw4:vaw:2) */
/******************************************/

/* calc coords, apply mask, and issue loads (if necessary) */
/* (d1,vc1,d0,vc0)=(3,1,2,0) */
s_mov_b32 s58, 128                                 // coordOffset0 d0=2 vc0=0
_v_add_co_u32 v132, vcc, v128, s58                 // coord0.2: coord0 += d0*sg0*VW + vc0
_v_add_lshl_u32 v134, v131, v132, 0x1              // scaleToBpe: accumulate d0 lower and *= bpe into Cin addr
_buffer_load_b64 v[138:139], v134, s[sgprSrdD:sgprSrdD+3], 0, offen offset:0 // load D (atomic) bpm=8 vaw=2
/* (d1,vc1,d0,vc0)=(3,1,3,0) */
s_mov_b32 s58, 192                                 // coordOffset0 d0=3 vc0=0
_v_add_co_u32 v132, vcc, v128, s58                 // coord0.2: coord0 += d0*sg0*VW + vc0
_v_add_lshl_u32 v135, v131, v132, 0x1              // scaleToBpe: accumulate d0 lower and *= bpe into Cin addr
_buffer_load_b64 v[142:143], v135, s[sgprSrdD:sgprSrdD+3], 0, offen offset:0 // load D (atomic) bpm=8 vaw=2
/* (d1,vc1,d0,vc0)=(3,2,0,0) */

/* Fix for UseInitialStridesCD, emitAddressSetupCode */
_v_add_u32 v130, v130, s[sgprStrideC1J]            // ROWINC- Move cinRowPtr to next row
_v_add_u32 v131, v131, s[sgprStrideD1J]            // Move coutRowPtr to next row
_v_add_lshl_u32 v144, v131, v128, 0x1              // scaleToBpe: accumulate d0 lower and *= bpe into Cin addr
_buffer_load_b64 v[150:151], v144, s[sgprSrdD:sgprSrdD+3], 0, offen offset:0 // load D (atomic) bpm=8 vaw=2
/* (d1,vc1,d0,vc0)=(3,2,1,0) */
_v_add_co_u32 v132, vcc, v128, 64                  // coord0.1: coord0 += d0*sg0*VW + vc0
_v_add_lshl_u32 v145, v131, v132, 0x1              // scaleToBpe: accumulate d0 lower and *= bpe into Cin addr
_buffer_load_b64 v[154:155], v145, s[sgprSrdD:sgprSrdD+3], 0, offen offset:0 // load D (atomic) bpm=8 vaw=2
/* (d1,vc1,d0,vc0)=(3,2,2,0) */
s_mov_b32 s58, 128                                 // coordOffset0 d0=2 vc0=0
_v_add_co_u32 v132, vcc, v128, s58                 // coord0.2: coord0 += d0*sg0*VW + vc0
_v_add_lshl_u32 v146, v131, v132, 0x1              // scaleToBpe: accumulate d0 lower and *= bpe into Cin addr
_buffer_load_b64 v[158:159], v146, s[sgprSrdD:sgprSrdD+3], 0, offen offset:0 // load D (atomic) bpm=8 vaw=2
/* (d1,vc1,d0,vc0)=(3,2,3,0) */
s_mov_b32 s58, 192                                 // coordOffset0 d0=3 vc0=0
_v_add_co_u32 v132, vcc, v128, s58                 // coord0.2: coord0 += d0*sg0*VW + vc0
_v_add_lshl_u32 v147, v131, v132, 0x1              // scaleToBpe: accumulate d0 lower and *= bpe into Cin addr
_buffer_load_b64 v[162:163], v147, s[sgprSrdD:sgprSrdD+3], 0, offen offset:0 // load D (atomic) bpm=8 vaw=2

/* rC *= alpha batchElements=[(3, 2, 1, 0), (3, 3, 1, 0), (3, 0, 2, 0), (3, 1, 2, 0), (3, 2, 2, 0), (3, 3, 2, 0)] */
v_pk_mul_f16 v[vgprValuC+108], s[sgprAlpha], v[vgprValuC+108] // *= alpha sumIdx=216 vi=1
v_pk_mul_f16 v[vgprValuC+109], s[sgprAlpha], v[vgprValuC+109] // *= alpha sumIdx=216 vi=3
	;; [unrolled: 1-line block ×12, first 2 shown]
s_waitcnt vmcnt(0)                                 // wait C (atomic)

/* issue first atomic writes */
v_mov_b32 v137, v138                               // v_mov for reordering loaded data
v_pk_add_f16 v136, v137, v[vgprValuC+108]          // desired value
_buffer_atomic_cmpswap_b32 v[136:137], v134, s[sgprSrdD:sgprSrdD+3] 0 offen offset:0 glc   // attempt write
v_pk_add_f16 v138, v139, v[vgprValuC+109]          // desired value
_buffer_atomic_cmpswap_b32 v[138:139], v134, s[sgprSrdD:sgprSrdD+3] 0 offen offset:4 glc   // attempt write
v_mov_b32 v141, v142                               // v_mov for reordering loaded data
v_pk_add_f16 v140, v141, v[vgprValuC+110]          // desired value
_buffer_atomic_cmpswap_b32 v[140:141], v135, s[sgprSrdD:sgprSrdD+3] 0 offen offset:0 glc   // attempt write
v_pk_add_f16 v142, v143, v[vgprValuC+111]          // desired value
_buffer_atomic_cmpswap_b32 v[142:143], v135, s[sgprSrdD:sgprSrdD+3] 0 offen offset:4 glc   // attempt write
	;; [unrolled: 5-line block ×6, first 2 shown]
s_waitcnt vmcnt(0)                                 // wait for atomic writes

/* check success of writes, update masks */
v_cmp_ne_u32 s[62:63], v136, v137                  // c read during atomic != c read during prior load
v_cmp_ne_u32 s[64:65], v138, v139                  // c read during atomic != c read during prior load
	;; [unrolled: 1-line block ×12, first 2 shown]

/* or masks to check for exit */
s_mov_b64 s[58:59], 0x0                            // empty mask
s_or_b64 s[58:59], s[62:63], s[58:59]              // or to add threads
s_or_b64 s[58:59], s[64:65], s[58:59]              // or to add threads
	;; [unrolled: 1-line block ×12, first 2 shown]
s_or_saveexec_b64 s[60:61], s[58:59]               // apply combined mask
s_cbranch_execz label_0094                         // if exec is zero skip loop

/* atomic CAS loop */
label_0093:

/* apply updated masks and issue writes again */
s_mov_b64 exec, s[62:63]                           // must try again
v_mov_b32 v137, v136                               // dataV+1 = tmp (new original C)
v_pk_add_f16 v136, v137, v[vgprValuC+108]          // newC = rC + originalC
_buffer_atomic_cmpswap_b32 v[136:137], v134, s[sgprSrdD:sgprSrdD+3] 0 offen offset:0 glc   // attempt write
s_mov_b64 exec, s[64:65]                           // must try again
v_mov_b32 v139, v138                               // dataV+1 = tmp (new original C)
v_pk_add_f16 v138, v139, v[vgprValuC+109]          // newC = rC + originalC
_buffer_atomic_cmpswap_b32 v[138:139], v134, s[sgprSrdD:sgprSrdD+3] 0 offen offset:4 glc   // attempt write
	;; [unrolled: 4-line block ×12, first 2 shown]
s_waitcnt vmcnt(0)                                 // wait for atomic writes

/* apply masks and check for success */
s_mov_b64 exec, s[62:63]                           // must try again
v_cmp_ne_u32 s[58:59], v136, v137                  // c read during atomic != c read during prior load
s_and_b64 s[62:63], s[58:59], s[62:63]             // inBounds & must try again
s_mov_b64 exec, s[64:65]                           // must try again
v_cmp_ne_u32 s[58:59], v138, v139                  // c read during atomic != c read during prior load
s_and_b64 s[64:65], s[58:59], s[64:65]             // inBounds & must try again
	;; [unrolled: 3-line block ×12, first 2 shown]

/* or masks to check for exit */
s_mov_b64 s[58:59], 0x0                            // empty mask
s_or_b64 s[58:59], s[62:63], s[58:59]              // or to add threads
s_or_b64 s[58:59], s[64:65], s[58:59]              // or to add threads
	;; [unrolled: 1-line block ×12, first 2 shown]
s_or_saveexec_b64 s[60:61], s[58:59]               // apply combined mask
s_cbranch_execnz label_0093                        // try again if not complete
label_0094:
s_mov_b64 exec, -1                                 // full mask -> exec
/* optSingleColVgpr=0 optSharedColVgpr=0 optSGPRUsage=None optSrdIncForRow=0 */

/******************************************/
/* Global Write Alpha Batch #10 (d1,d0,vc1,vc0) = */
/*    (3,0,3,0:vw4:vaw:2); (3,1,3,0:vw4:vaw:2); (3,2,3,0:vw4:vaw:2); (3,3,3,0:vw4:vaw:2) */
/******************************************/

/* calc coords, apply mask, and issue loads (if necessary) */
/* (d1,vc1,d0,vc0)=(3,3,0,0) */

/* Fix for UseInitialStridesCD, emitAddressSetupCode */
_v_add_u32 v130, v130, s[sgprStrideC1J]            // ROWINC- Move cinRowPtr to next row
_v_add_u32 v131, v131, s[sgprStrideD1J]            // Move coutRowPtr to next row
_v_add_lshl_u32 v134, v131, v128, 0x1              // scaleToBpe: accumulate d0 lower and *= bpe into Cin addr
_buffer_load_b64 v[138:139], v134, s[sgprSrdD:sgprSrdD+3], 0, offen offset:0 // load D (atomic) bpm=8 vaw=2
/* (d1,vc1,d0,vc0)=(3,3,1,0) */
_v_add_co_u32 v132, vcc, v128, 64                  // coord0.1: coord0 += d0*sg0*VW + vc0
_v_add_lshl_u32 v135, v131, v132, 0x1              // scaleToBpe: accumulate d0 lower and *= bpe into Cin addr
_buffer_load_b64 v[142:143], v135, s[sgprSrdD:sgprSrdD+3], 0, offen offset:0 // load D (atomic) bpm=8 vaw=2
/* (d1,vc1,d0,vc0)=(3,3,2,0) */
s_mov_b32 s58, 128                                 // coordOffset0 d0=2 vc0=0
_v_add_co_u32 v132, vcc, v128, s58                 // coord0.2: coord0 += d0*sg0*VW + vc0
_v_add_lshl_u32 v144, v131, v132, 0x1              // scaleToBpe: accumulate d0 lower and *= bpe into Cin addr
_buffer_load_b64 v[150:151], v144, s[sgprSrdD:sgprSrdD+3], 0, offen offset:0 // load D (atomic) bpm=8 vaw=2
/* (d1,vc1,d0,vc0)=(3,3,3,0) */
s_mov_b32 s58, 192                                 // coordOffset0 d0=3 vc0=0
_v_add_co_u32 v132, vcc, v128, s58                 // coord0.2: coord0 += d0*sg0*VW + vc0
_v_add_lshl_u32 v145, v131, v132, 0x1              // scaleToBpe: accumulate d0 lower and *= bpe into Cin addr
_buffer_load_b64 v[154:155], v145, s[sgprSrdD:sgprSrdD+3], 0, offen offset:0 // load D (atomic) bpm=8 vaw=2

/* rC *= alpha batchElements=[(3, 0, 3, 0), (3, 1, 3, 0), (3, 2, 3, 0), (3, 3, 3, 0)] */
v_pk_mul_f16 v[vgprValuC+120], s[sgprAlpha], v[vgprValuC+120] // *= alpha sumIdx=240 vi=1
v_pk_mul_f16 v[vgprValuC+121], s[sgprAlpha], v[vgprValuC+121] // *= alpha sumIdx=240 vi=3
	;; [unrolled: 1-line block ×8, first 2 shown]
s_waitcnt vmcnt(0)                                 // wait C (atomic)

/* issue first atomic writes */
v_mov_b32 v137, v138                               // v_mov for reordering loaded data
v_pk_add_f16 v136, v137, v[vgprValuC+120]          // desired value
_buffer_atomic_cmpswap_b32 v[136:137], v134, s[sgprSrdD:sgprSrdD+3] 0 offen offset:0 glc   // attempt write
v_pk_add_f16 v138, v139, v[vgprValuC+121]          // desired value
_buffer_atomic_cmpswap_b32 v[138:139], v134, s[sgprSrdD:sgprSrdD+3] 0 offen offset:4 glc   // attempt write
v_mov_b32 v141, v142                               // v_mov for reordering loaded data
v_pk_add_f16 v140, v141, v[vgprValuC+122]          // desired value
_buffer_atomic_cmpswap_b32 v[140:141], v135, s[sgprSrdD:sgprSrdD+3] 0 offen offset:0 glc   // attempt write
v_pk_add_f16 v142, v143, v[vgprValuC+123]          // desired value
_buffer_atomic_cmpswap_b32 v[142:143], v135, s[sgprSrdD:sgprSrdD+3] 0 offen offset:4 glc   // attempt write
v_mov_b32 v149, v150                               // v_mov for reordering loaded data
v_pk_add_f16 v148, v149, v[vgprValuC+124]          // desired value
_buffer_atomic_cmpswap_b32 v[148:149], v144, s[sgprSrdD:sgprSrdD+3] 0 offen offset:0 glc   // attempt write
v_pk_add_f16 v150, v151, v[vgprValuC+125]          // desired value
_buffer_atomic_cmpswap_b32 v[150:151], v144, s[sgprSrdD:sgprSrdD+3] 0 offen offset:4 glc   // attempt write
v_mov_b32 v153, v154                               // v_mov for reordering loaded data
v_pk_add_f16 v152, v153, v[vgprValuC+126]          // desired value
_buffer_atomic_cmpswap_b32 v[152:153], v145, s[sgprSrdD:sgprSrdD+3] 0 offen offset:0 glc   // attempt write
v_pk_add_f16 v154, v155, v[vgprValuC+127]          // desired value
_buffer_atomic_cmpswap_b32 v[154:155], v145, s[sgprSrdD:sgprSrdD+3] 0 offen offset:4 glc   // attempt write
s_waitcnt vmcnt(0)                                 // wait for atomic writes

/* check success of writes, update masks */
v_cmp_ne_u32 s[62:63], v136, v137                  // c read during atomic != c read during prior load
v_cmp_ne_u32 s[64:65], v138, v139                  // c read during atomic != c read during prior load
	;; [unrolled: 1-line block ×8, first 2 shown]

/* or masks to check for exit */
s_mov_b64 s[58:59], 0x0                            // empty mask
s_or_b64 s[58:59], s[62:63], s[58:59]              // or to add threads
s_or_b64 s[58:59], s[64:65], s[58:59]              // or to add threads
	;; [unrolled: 1-line block ×8, first 2 shown]
s_or_saveexec_b64 s[60:61], s[58:59]               // apply combined mask
s_cbranch_execz label_0096                         // if exec is zero skip loop

/* atomic CAS loop */
label_0095:

/* apply updated masks and issue writes again */
s_mov_b64 exec, s[62:63]                           // must try again
v_mov_b32 v137, v136                               // dataV+1 = tmp (new original C)
v_pk_add_f16 v136, v137, v[vgprValuC+120]          // newC = rC + originalC
_buffer_atomic_cmpswap_b32 v[136:137], v134, s[sgprSrdD:sgprSrdD+3] 0 offen offset:0 glc   // attempt write
s_mov_b64 exec, s[64:65]                           // must try again
v_mov_b32 v139, v138                               // dataV+1 = tmp (new original C)
v_pk_add_f16 v138, v139, v[vgprValuC+121]          // newC = rC + originalC
_buffer_atomic_cmpswap_b32 v[138:139], v134, s[sgprSrdD:sgprSrdD+3] 0 offen offset:4 glc   // attempt write
	;; [unrolled: 4-line block ×8, first 2 shown]
s_waitcnt vmcnt(0)                                 // wait for atomic writes

/* apply masks and check for success */
s_mov_b64 exec, s[62:63]                           // must try again
v_cmp_ne_u32 s[58:59], v136, v137                  // c read during atomic != c read during prior load
s_and_b64 s[62:63], s[58:59], s[62:63]             // inBounds & must try again
s_mov_b64 exec, s[64:65]                           // must try again
v_cmp_ne_u32 s[58:59], v138, v139                  // c read during atomic != c read during prior load
s_and_b64 s[64:65], s[58:59], s[64:65]             // inBounds & must try again
	;; [unrolled: 3-line block ×8, first 2 shown]

/* or masks to check for exit */
s_mov_b64 s[58:59], 0x0                            // empty mask
s_or_b64 s[58:59], s[62:63], s[58:59]              // or to add threads
s_or_b64 s[58:59], s[64:65], s[58:59]              // or to add threads
	;; [unrolled: 1-line block ×8, first 2 shown]
s_or_saveexec_b64 s[60:61], s[58:59]               // apply combined mask
s_cbranch_execnz label_0095                        // try again if not complete
label_0096:
s_mov_b64 exec, -1                                 // full mask -> exec
s_branch label_GW_End_70                           // jump to end
GW_B0_E1_68:

/* edge=1, allocate 28 sgpr. perBatchTmpS=4 perBatchMaskS=0 perElementMaskS=2 elementsPerBatch=12 */
/* optSingleColVgpr=0 optSharedColVgpr=0 optSGPRUsage=None optSrdIncForRow=0 */

/******************************************/
/* Global Write Alpha Edge Batch #0 (d1,d0,vc1,vc0) = */
/*    (0,0,0,0:vw2:vaw:2); (0,0,0,2:vw2:vaw:2); (0,1,0,0:vw2:vaw:2); (0,1,0,2:vw2:vaw:2); (0,2,0,0:vw2:vaw:2); (0,2,0,2:vw2:vaw:2); (0,3,0,0:vw2:vaw:2); (0,3,0,2:vw2:vaw:2); (0,0,1,0:vw2:vaw:2); (0,0,1,2:vw2:vaw:2); (0,1,1,0:vw2:vaw:2); (0,1,1,2:vw2:vaw:2) */
/******************************************/

/* calc coords, apply mask, and issue loads (if necessary) */
/* (d1,vc1,d0,vc0)=(0,0,0,0) */
v_cmp_lt_u32 s[58:59], v128, s[sgprSizeI]          // coord0 < size0
v_cmp_lt_u32 s[62:63], v129, s[sgprSizeJ]          // coord1 < size1
s_and_b64 s[62:63], s[58:59], s[62:63]             // in0 && in1
_v_add_lshl_u32 v134, v131, v128, 0x1              // scaleToBpe: accumulate d0 lower and *= bpe into Cin addr
v_cndmask_b32 v134, -1, v134, s[62:63]             // LDD clip if OOB. offset
_buffer_load_b32 v137, v134, s[sgprSrdD:sgprSrdD+3], 0, offen offset:0 // load D (atomic) bpm=4 vaw=2
/* (d1,vc1,d0,vc0)=(0,0,0,2) */
_v_add_co_u32 v132, vcc, v128, 2                   // coord0.1: coord0 += d0*sg0*VW + vc0
v_cmp_lt_u32 s[58:59], v132, s[sgprSizeI]          // coord0 < size0
v_cmp_lt_u32 s[64:65], v129, s[sgprSizeJ]          // coord1 < size1
s_and_b64 s[64:65], s[58:59], s[64:65]             // in0 && in1
_v_add_lshl_u32 v135, v131, v132, 0x1              // scaleToBpe: accumulate d0 lower and *= bpe into Cin addr
v_cndmask_b32 v135, -1, v135, s[64:65]             // LDD clip if OOB. offset
_buffer_load_b32 v139, v135, s[sgprSrdD:sgprSrdD+3], 0, offen offset:0 // load D (atomic) bpm=4 vaw=2
/* (d1,vc1,d0,vc0)=(0,0,1,0) */
_v_add_co_u32 v132, vcc, v128, 64                  // coord0.1: coord0 += d0*sg0*VW + vc0
v_cmp_lt_u32 s[58:59], v132, s[sgprSizeI]          // coord0 < size0
v_cmp_lt_u32 s[66:67], v129, s[sgprSizeJ]          // coord1 < size1
s_and_b64 s[66:67], s[58:59], s[66:67]             // in0 && in1
_v_add_lshl_u32 v140, v131, v132, 0x1              // scaleToBpe: accumulate d0 lower and *= bpe into Cin addr
v_cndmask_b32 v140, -1, v140, s[66:67]             // LDD clip if OOB. offset
_buffer_load_b32 v143, v140, s[sgprSrdD:sgprSrdD+3], 0, offen offset:0 // load D (atomic) bpm=4 vaw=2
/* (d1,vc1,d0,vc0)=(0,0,1,2) */
s_mov_b32 s58, 66                                  // coordOffset0 d0=1 vc0=2
_v_add_co_u32 v132, vcc, v128, s58                 // coord0.2: coord0 += d0*sg0*VW + vc0
v_cmp_lt_u32 s[58:59], v132, s[sgprSizeI]          // coord0 < size0
v_cmp_lt_u32 s[68:69], v129, s[sgprSizeJ]          // coord1 < size1
s_and_b64 s[68:69], s[58:59], s[68:69]             // in0 && in1
_v_add_lshl_u32 v141, v131, v132, 0x1              // scaleToBpe: accumulate d0 lower and *= bpe into Cin addr
v_cndmask_b32 v141, -1, v141, s[68:69]             // LDD clip if OOB. offset
_buffer_load_b32 v145, v141, s[sgprSrdD:sgprSrdD+3], 0, offen offset:0 // load D (atomic) bpm=4 vaw=2
/* (d1,vc1,d0,vc0)=(0,0,2,0) */
s_mov_b32 s58, 128                                 // coordOffset0 d0=2 vc0=0
_v_add_co_u32 v132, vcc, v128, s58                 // coord0.2: coord0 += d0*sg0*VW + vc0
v_cmp_lt_u32 s[58:59], v132, s[sgprSizeI]          // coord0 < size0
v_cmp_lt_u32 s[70:71], v129, s[sgprSizeJ]          // coord1 < size1
s_and_b64 s[70:71], s[58:59], s[70:71]             // in0 && in1
_v_add_lshl_u32 v146, v131, v132, 0x1              // scaleToBpe: accumulate d0 lower and *= bpe into Cin addr
v_cndmask_b32 v146, -1, v146, s[70:71]             // LDD clip if OOB. offset
_buffer_load_b32 v149, v146, s[sgprSrdD:sgprSrdD+3], 0, offen offset:0 // load D (atomic) bpm=4 vaw=2
/* (d1,vc1,d0,vc0)=(0,0,2,2) */
s_mov_b32 s58, 130                                 // coordOffset0 d0=2 vc0=2
	;; [unrolled: 9-line block ×4, first 2 shown]
_v_add_co_u32 v132, vcc, v128, s58                 // coord0.2: coord0 += d0*sg0*VW + vc0
v_cmp_lt_u32 s[58:59], v132, s[sgprSizeI]          // coord0 < size0
v_cmp_lt_u32 s[76:77], v129, s[sgprSizeJ]          // coord1 < size1
s_and_b64 s[76:77], s[58:59], s[76:77]             // in0 && in1
_v_add_lshl_u32 v153, v131, v132, 0x1              // scaleToBpe: accumulate d0 lower and *= bpe into Cin addr
v_cndmask_b32 v153, -1, v153, s[76:77]             // LDD clip if OOB. offset
_buffer_load_b32 v157, v153, s[sgprSrdD:sgprSrdD+3], 0, offen offset:0 // load D (atomic) bpm=4 vaw=2
/* (d1,vc1,d0,vc0)=(0,1,0,0) */
_v_add_co_u32 v129, vcc, v129, 1                   // coord1.1: coord1Vgpr += d1*sg1*VW + vc1

/* Fix for UseInitialStridesCD, emitAddressSetupCode */
_v_add_u32 v130, v130, s[sgprStrideC1J]            // ROWINC- Move cinRowPtr to next row
_v_add_u32 v131, v131, s[sgprStrideD1J]            // Move coutRowPtr to next row
v_cmp_lt_u32 s[58:59], v128, s[sgprSizeI]          // coord0 < size0
v_cmp_lt_u32 s[78:79], v129, s[sgprSizeJ]          // coord1 < size1
s_and_b64 s[78:79], s[58:59], s[78:79]             // in0 && in1
_v_add_lshl_u32 v158, v131, v128, 0x1              // scaleToBpe: accumulate d0 lower and *= bpe into Cin addr
v_cndmask_b32 v158, -1, v158, s[78:79]             // LDD clip if OOB. offset
_buffer_load_b32 v161, v158, s[sgprSrdD:sgprSrdD+3], 0, offen offset:0 // load D (atomic) bpm=4 vaw=2
/* (d1,vc1,d0,vc0)=(0,1,0,2) */
_v_add_co_u32 v132, vcc, v128, 2                   // coord0.1: coord0 += d0*sg0*VW + vc0
v_cmp_lt_u32 s[58:59], v132, s[sgprSizeI]          // coord0 < size0
v_cmp_lt_u32 s[80:81], v129, s[sgprSizeJ]          // coord1 < size1
s_and_b64 s[80:81], s[58:59], s[80:81]             // in0 && in1
_v_add_lshl_u32 v159, v131, v132, 0x1              // scaleToBpe: accumulate d0 lower and *= bpe into Cin addr
v_cndmask_b32 v159, -1, v159, s[80:81]             // LDD clip if OOB. offset
_buffer_load_b32 v163, v159, s[sgprSrdD:sgprSrdD+3], 0, offen offset:0 // load D (atomic) bpm=4 vaw=2
/* (d1,vc1,d0,vc0)=(0,1,1,0) */
_v_add_co_u32 v132, vcc, v128, 64                  // coord0.1: coord0 += d0*sg0*VW + vc0
v_cmp_lt_u32 s[58:59], v132, s[sgprSizeI]          // coord0 < size0
v_cmp_lt_u32 s[82:83], v129, s[sgprSizeJ]          // coord1 < size1
s_and_b64 s[82:83], s[58:59], s[82:83]             // in0 && in1
_v_add_lshl_u32 v164, v131, v132, 0x1              // scaleToBpe: accumulate d0 lower and *= bpe into Cin addr
v_cndmask_b32 v164, -1, v164, s[82:83]             // LDD clip if OOB. offset
_buffer_load_b32 v167, v164, s[sgprSrdD:sgprSrdD+3], 0, offen offset:0 // load D (atomic) bpm=4 vaw=2
/* (d1,vc1,d0,vc0)=(0,1,1,2) */
s_mov_b32 s58, 66                                  // coordOffset0 d0=1 vc0=2
_v_add_co_u32 v132, vcc, v128, s58                 // coord0.2: coord0 += d0*sg0*VW + vc0
v_cmp_lt_u32 s[58:59], v132, s[sgprSizeI]          // coord0 < size0
v_cmp_lt_u32 s[84:85], v129, s[sgprSizeJ]          // coord1 < size1
s_and_b64 s[84:85], s[58:59], s[84:85]             // in0 && in1
_v_add_lshl_u32 v165, v131, v132, 0x1              // scaleToBpe: accumulate d0 lower and *= bpe into Cin addr
v_cndmask_b32 v165, -1, v165, s[84:85]             // LDD clip if OOB. offset
_buffer_load_b32 v169, v165, s[sgprSrdD:sgprSrdD+3], 0, offen offset:0 // load D (atomic) bpm=4 vaw=2

/* rC *= alpha batchElements=[(0, 0, 0, 0), (0, 0, 0, 2), (0, 1, 0, 0), (0, 1, 0, 2), (0, 2, 0, 0), (0, 2, 0, 2), (0, 3, 0, 0), (0, 3, 0, 2), (0, 0, 1, 0), (0, 0, 1, 2), (0, 1, 1, 0), (0, 1, 1, 2)] */
v_pk_mul_f16 v[vgprValuC+0], s[sgprAlpha], v[vgprValuC+0] // *= alpha sumIdx=0 vi=1
v_pk_mul_f16 v[vgprValuC+1], s[sgprAlpha], v[vgprValuC+1] // *= alpha sumIdx=2 vi=1
	;; [unrolled: 1-line block ×12, first 2 shown]
s_waitcnt vmcnt(0)                                 // wait C (atomic)

/* issue first atomic writes */
s_mov_b64 exec, s[62:63]                           // sgprs -> exec (before atomic)
v_pk_add_f16 v136, v137, v[vgprValuC+0]            // desired value
_buffer_atomic_cmpswap_b32 v[136:137], v134, s[sgprSrdD:sgprSrdD+3] 0 offen offset:0 glc   // attempt write
s_mov_b64 exec, s[64:65]                           // sgprs -> exec (before atomic)
v_pk_add_f16 v138, v139, v[vgprValuC+1]            // desired value
_buffer_atomic_cmpswap_b32 v[138:139], v135, s[sgprSrdD:sgprSrdD+3] 0 offen offset:0 glc   // attempt write
	;; [unrolled: 3-line block ×10, first 2 shown]
s_mov_b64 exec, s[82:83]                           // sgprs -> exec (before atomic)
v_pk_add_f16 v166, v167, v[vgprValuC+10]           // desired value
_buffer_atomic_cmpswap_b32 v[166:167], v164, s[sgprSrdD:sgprSrdD+3] 0 offen offset:0 glc   // attempt write
s_mov_b64 exec, s[84:85]                           // sgprs -> exec (before atomic)
v_pk_add_f16 v168, v169, v[vgprValuC+11]           // desired value
_buffer_atomic_cmpswap_b32 v[168:169], v165, s[sgprSrdD:sgprSrdD+3] 0 offen offset:0 glc   // attempt write
s_waitcnt vmcnt(0)                                 // wait for atomic writes

/* check success of writes, update masks */
s_mov_b64 exec, s[62:63]                           // sgprs -> exec
v_cmp_ne_u32 s[58:59], v136, v137                  // c read during atomic != c read during prior load
s_and_b64 s[62:63], s[58:59], s[62:63]             // inBounds & must try again
s_mov_b64 exec, s[64:65]                           // sgprs -> exec
v_cmp_ne_u32 s[58:59], v138, v139                  // c read during atomic != c read during prior load
s_and_b64 s[64:65], s[58:59], s[64:65]             // inBounds & must try again
	;; [unrolled: 3-line block ×12, first 2 shown]

/* or masks to check for exit */
s_mov_b64 s[58:59], 0x0                            // empty mask
s_or_b64 s[58:59], s[62:63], s[58:59]              // or to add threads
s_or_b64 s[58:59], s[64:65], s[58:59]              // or to add threads
	;; [unrolled: 1-line block ×12, first 2 shown]
s_or_saveexec_b64 s[60:61], s[58:59]               // apply combined mask
s_cbranch_execz label_0098                         // if exec is zero skip loop

/* atomic CAS loop */
label_0097:

/* apply updated masks and issue writes again */
s_mov_b64 exec, s[62:63]                           // must try again
v_mov_b32 v137, v136                               // dataV+1 = tmp (new original C)
v_pk_add_f16 v136, v137, v[vgprValuC+0]            // newC = rC + originalC
_buffer_atomic_cmpswap_b32 v[136:137], v134, s[sgprSrdD:sgprSrdD+3] 0 offen offset:0 glc   // attempt write
s_mov_b64 exec, s[64:65]                           // must try again
v_mov_b32 v139, v138                               // dataV+1 = tmp (new original C)
v_pk_add_f16 v138, v139, v[vgprValuC+1]            // newC = rC + originalC
_buffer_atomic_cmpswap_b32 v[138:139], v135, s[sgprSrdD:sgprSrdD+3] 0 offen offset:0 glc   // attempt write
	;; [unrolled: 4-line block ×10, first 2 shown]
s_mov_b64 exec, s[82:83]                           // must try again
v_mov_b32 v167, v166                               // dataV+1 = tmp (new original C)
v_pk_add_f16 v166, v167, v[vgprValuC+10]           // newC = rC + originalC
_buffer_atomic_cmpswap_b32 v[166:167], v164, s[sgprSrdD:sgprSrdD+3] 0 offen offset:0 glc   // attempt write
s_mov_b64 exec, s[84:85]                           // must try again
v_mov_b32 v169, v168                               // dataV+1 = tmp (new original C)
v_pk_add_f16 v168, v169, v[vgprValuC+11]           // newC = rC + originalC
_buffer_atomic_cmpswap_b32 v[168:169], v165, s[sgprSrdD:sgprSrdD+3] 0 offen offset:0 glc   // attempt write
s_waitcnt vmcnt(0)                                 // wait for atomic writes

/* apply masks and check for success */
s_mov_b64 exec, s[62:63]                           // must try again
v_cmp_ne_u32 s[58:59], v136, v137                  // c read during atomic != c read during prior load
s_and_b64 s[62:63], s[58:59], s[62:63]             // inBounds & must try again
s_mov_b64 exec, s[64:65]                           // must try again
v_cmp_ne_u32 s[58:59], v138, v139                  // c read during atomic != c read during prior load
s_and_b64 s[64:65], s[58:59], s[64:65]             // inBounds & must try again
	;; [unrolled: 3-line block ×12, first 2 shown]

/* or masks to check for exit */
s_mov_b64 s[58:59], 0x0                            // empty mask
s_or_b64 s[58:59], s[62:63], s[58:59]              // or to add threads
s_or_b64 s[58:59], s[64:65], s[58:59]              // or to add threads
	;; [unrolled: 1-line block ×12, first 2 shown]
s_or_saveexec_b64 s[60:61], s[58:59]               // apply combined mask
s_cbranch_execnz label_0097                        // try again if not complete
label_0098:
s_mov_b64 exec, -1                                 // full mask -> exec
/* optSingleColVgpr=0 optSharedColVgpr=0 optSGPRUsage=None optSrdIncForRow=0 */

/******************************************/
/* Global Write Alpha Edge Batch #1 (d1,d0,vc1,vc0) = */
/*    (0,2,1,0:vw2:vaw:2); (0,2,1,2:vw2:vaw:2); (0,3,1,0:vw2:vaw:2); (0,3,1,2:vw2:vaw:2); (0,0,2,0:vw2:vaw:2); (0,0,2,2:vw2:vaw:2); (0,1,2,0:vw2:vaw:2); (0,1,2,2:vw2:vaw:2); (0,2,2,0:vw2:vaw:2); (0,2,2,2:vw2:vaw:2); (0,3,2,0:vw2:vaw:2); (0,3,2,2:vw2:vaw:2) */
/******************************************/

/* calc coords, apply mask, and issue loads (if necessary) */
/* (d1,vc1,d0,vc0)=(0,1,2,0) */
s_mov_b32 s58, 128                                 // coordOffset0 d0=2 vc0=0
_v_add_co_u32 v132, vcc, v128, s58                 // coord0.2: coord0 += d0*sg0*VW + vc0
v_cmp_lt_u32 s[58:59], v132, s[sgprSizeI]          // coord0 < size0
v_cmp_lt_u32 s[62:63], v129, s[sgprSizeJ]          // coord1 < size1
s_and_b64 s[62:63], s[58:59], s[62:63]             // in0 && in1
_v_add_lshl_u32 v134, v131, v132, 0x1              // scaleToBpe: accumulate d0 lower and *= bpe into Cin addr
v_cndmask_b32 v134, -1, v134, s[62:63]             // LDD clip if OOB. offset
_buffer_load_b32 v137, v134, s[sgprSrdD:sgprSrdD+3], 0, offen offset:0 // load D (atomic) bpm=4 vaw=2
/* (d1,vc1,d0,vc0)=(0,1,2,2) */
s_mov_b32 s58, 130                                 // coordOffset0 d0=2 vc0=2
_v_add_co_u32 v132, vcc, v128, s58                 // coord0.2: coord0 += d0*sg0*VW + vc0
v_cmp_lt_u32 s[58:59], v132, s[sgprSizeI]          // coord0 < size0
v_cmp_lt_u32 s[64:65], v129, s[sgprSizeJ]          // coord1 < size1
s_and_b64 s[64:65], s[58:59], s[64:65]             // in0 && in1
_v_add_lshl_u32 v135, v131, v132, 0x1              // scaleToBpe: accumulate d0 lower and *= bpe into Cin addr
v_cndmask_b32 v135, -1, v135, s[64:65]             // LDD clip if OOB. offset
_buffer_load_b32 v139, v135, s[sgprSrdD:sgprSrdD+3], 0, offen offset:0 // load D (atomic) bpm=4 vaw=2
	;; [unrolled: 9-line block ×4, first 2 shown]
/* (d1,vc1,d0,vc0)=(0,2,0,0) */
_v_add_co_u32 v129, vcc, v129, 1                   // coord1.1: coord1Vgpr += d1*sg1*VW + vc1

/* Fix for UseInitialStridesCD, emitAddressSetupCode */
_v_add_u32 v130, v130, s[sgprStrideC1J]            // ROWINC- Move cinRowPtr to next row
_v_add_u32 v131, v131, s[sgprStrideD1J]            // Move coutRowPtr to next row
v_cmp_lt_u32 s[58:59], v128, s[sgprSizeI]          // coord0 < size0
v_cmp_lt_u32 s[70:71], v129, s[sgprSizeJ]          // coord1 < size1
s_and_b64 s[70:71], s[58:59], s[70:71]             // in0 && in1
_v_add_lshl_u32 v146, v131, v128, 0x1              // scaleToBpe: accumulate d0 lower and *= bpe into Cin addr
v_cndmask_b32 v146, -1, v146, s[70:71]             // LDD clip if OOB. offset
_buffer_load_b32 v149, v146, s[sgprSrdD:sgprSrdD+3], 0, offen offset:0 // load D (atomic) bpm=4 vaw=2
/* (d1,vc1,d0,vc0)=(0,2,0,2) */
_v_add_co_u32 v132, vcc, v128, 2                   // coord0.1: coord0 += d0*sg0*VW + vc0
v_cmp_lt_u32 s[58:59], v132, s[sgprSizeI]          // coord0 < size0
v_cmp_lt_u32 s[72:73], v129, s[sgprSizeJ]          // coord1 < size1
s_and_b64 s[72:73], s[58:59], s[72:73]             // in0 && in1
_v_add_lshl_u32 v147, v131, v132, 0x1              // scaleToBpe: accumulate d0 lower and *= bpe into Cin addr
v_cndmask_b32 v147, -1, v147, s[72:73]             // LDD clip if OOB. offset
_buffer_load_b32 v151, v147, s[sgprSrdD:sgprSrdD+3], 0, offen offset:0 // load D (atomic) bpm=4 vaw=2
/* (d1,vc1,d0,vc0)=(0,2,1,0) */
_v_add_co_u32 v132, vcc, v128, 64                  // coord0.1: coord0 += d0*sg0*VW + vc0
v_cmp_lt_u32 s[58:59], v132, s[sgprSizeI]          // coord0 < size0
v_cmp_lt_u32 s[74:75], v129, s[sgprSizeJ]          // coord1 < size1
s_and_b64 s[74:75], s[58:59], s[74:75]             // in0 && in1
_v_add_lshl_u32 v152, v131, v132, 0x1              // scaleToBpe: accumulate d0 lower and *= bpe into Cin addr
v_cndmask_b32 v152, -1, v152, s[74:75]             // LDD clip if OOB. offset
_buffer_load_b32 v155, v152, s[sgprSrdD:sgprSrdD+3], 0, offen offset:0 // load D (atomic) bpm=4 vaw=2
/* (d1,vc1,d0,vc0)=(0,2,1,2) */
s_mov_b32 s58, 66                                  // coordOffset0 d0=1 vc0=2
_v_add_co_u32 v132, vcc, v128, s58                 // coord0.2: coord0 += d0*sg0*VW + vc0
v_cmp_lt_u32 s[58:59], v132, s[sgprSizeI]          // coord0 < size0
v_cmp_lt_u32 s[76:77], v129, s[sgprSizeJ]          // coord1 < size1
s_and_b64 s[76:77], s[58:59], s[76:77]             // in0 && in1
_v_add_lshl_u32 v153, v131, v132, 0x1              // scaleToBpe: accumulate d0 lower and *= bpe into Cin addr
v_cndmask_b32 v153, -1, v153, s[76:77]             // LDD clip if OOB. offset
_buffer_load_b32 v157, v153, s[sgprSrdD:sgprSrdD+3], 0, offen offset:0 // load D (atomic) bpm=4 vaw=2
/* (d1,vc1,d0,vc0)=(0,2,2,0) */
s_mov_b32 s58, 128                                 // coordOffset0 d0=2 vc0=0
_v_add_co_u32 v132, vcc, v128, s58                 // coord0.2: coord0 += d0*sg0*VW + vc0
v_cmp_lt_u32 s[58:59], v132, s[sgprSizeI]          // coord0 < size0
v_cmp_lt_u32 s[78:79], v129, s[sgprSizeJ]          // coord1 < size1
s_and_b64 s[78:79], s[58:59], s[78:79]             // in0 && in1
_v_add_lshl_u32 v158, v131, v132, 0x1              // scaleToBpe: accumulate d0 lower and *= bpe into Cin addr
v_cndmask_b32 v158, -1, v158, s[78:79]             // LDD clip if OOB. offset
_buffer_load_b32 v161, v158, s[sgprSrdD:sgprSrdD+3], 0, offen offset:0 // load D (atomic) bpm=4 vaw=2
/* (d1,vc1,d0,vc0)=(0,2,2,2) */
s_mov_b32 s58, 130                                 // coordOffset0 d0=2 vc0=2
	;; [unrolled: 9-line block ×4, first 2 shown]
_v_add_co_u32 v132, vcc, v128, s58                 // coord0.2: coord0 += d0*sg0*VW + vc0
v_cmp_lt_u32 s[58:59], v132, s[sgprSizeI]          // coord0 < size0
v_cmp_lt_u32 s[84:85], v129, s[sgprSizeJ]          // coord1 < size1
s_and_b64 s[84:85], s[58:59], s[84:85]             // in0 && in1
_v_add_lshl_u32 v165, v131, v132, 0x1              // scaleToBpe: accumulate d0 lower and *= bpe into Cin addr
v_cndmask_b32 v165, -1, v165, s[84:85]             // LDD clip if OOB. offset
_buffer_load_b32 v169, v165, s[sgprSrdD:sgprSrdD+3], 0, offen offset:0 // load D (atomic) bpm=4 vaw=2

/* rC *= alpha batchElements=[(0, 2, 1, 0), (0, 2, 1, 2), (0, 3, 1, 0), (0, 3, 1, 2), (0, 0, 2, 0), (0, 0, 2, 2), (0, 1, 2, 0), (0, 1, 2, 2), (0, 2, 2, 0), (0, 2, 2, 2), (0, 3, 2, 0), (0, 3, 2, 2)] */
v_pk_mul_f16 v[vgprValuC+12], s[sgprAlpha], v[vgprValuC+12] // *= alpha sumIdx=24 vi=1
v_pk_mul_f16 v[vgprValuC+13], s[sgprAlpha], v[vgprValuC+13] // *= alpha sumIdx=26 vi=1
	;; [unrolled: 1-line block ×12, first 2 shown]
s_waitcnt vmcnt(0)                                 // wait C (atomic)

/* issue first atomic writes */
s_mov_b64 exec, s[62:63]                           // sgprs -> exec (before atomic)
v_pk_add_f16 v136, v137, v[vgprValuC+12]           // desired value
_buffer_atomic_cmpswap_b32 v[136:137], v134, s[sgprSrdD:sgprSrdD+3] 0 offen offset:0 glc   // attempt write
s_mov_b64 exec, s[64:65]                           // sgprs -> exec (before atomic)
v_pk_add_f16 v138, v139, v[vgprValuC+13]           // desired value
_buffer_atomic_cmpswap_b32 v[138:139], v135, s[sgprSrdD:sgprSrdD+3] 0 offen offset:0 glc   // attempt write
	;; [unrolled: 3-line block ×12, first 2 shown]
s_waitcnt vmcnt(0)                                 // wait for atomic writes

/* check success of writes, update masks */
s_mov_b64 exec, s[62:63]                           // sgprs -> exec
v_cmp_ne_u32 s[58:59], v136, v137                  // c read during atomic != c read during prior load
s_and_b64 s[62:63], s[58:59], s[62:63]             // inBounds & must try again
s_mov_b64 exec, s[64:65]                           // sgprs -> exec
v_cmp_ne_u32 s[58:59], v138, v139                  // c read during atomic != c read during prior load
s_and_b64 s[64:65], s[58:59], s[64:65]             // inBounds & must try again
	;; [unrolled: 3-line block ×12, first 2 shown]

/* or masks to check for exit */
s_mov_b64 s[58:59], 0x0                            // empty mask
s_or_b64 s[58:59], s[62:63], s[58:59]              // or to add threads
s_or_b64 s[58:59], s[64:65], s[58:59]              // or to add threads
	;; [unrolled: 1-line block ×12, first 2 shown]
s_or_saveexec_b64 s[60:61], s[58:59]               // apply combined mask
s_cbranch_execz label_0100                         // if exec is zero skip loop

/* atomic CAS loop */
label_0099:

/* apply updated masks and issue writes again */
s_mov_b64 exec, s[62:63]                           // must try again
v_mov_b32 v137, v136                               // dataV+1 = tmp (new original C)
v_pk_add_f16 v136, v137, v[vgprValuC+12]           // newC = rC + originalC
_buffer_atomic_cmpswap_b32 v[136:137], v134, s[sgprSrdD:sgprSrdD+3] 0 offen offset:0 glc   // attempt write
s_mov_b64 exec, s[64:65]                           // must try again
v_mov_b32 v139, v138                               // dataV+1 = tmp (new original C)
v_pk_add_f16 v138, v139, v[vgprValuC+13]           // newC = rC + originalC
_buffer_atomic_cmpswap_b32 v[138:139], v135, s[sgprSrdD:sgprSrdD+3] 0 offen offset:0 glc   // attempt write
	;; [unrolled: 4-line block ×12, first 2 shown]
s_waitcnt vmcnt(0)                                 // wait for atomic writes

/* apply masks and check for success */
s_mov_b64 exec, s[62:63]                           // must try again
v_cmp_ne_u32 s[58:59], v136, v137                  // c read during atomic != c read during prior load
s_and_b64 s[62:63], s[58:59], s[62:63]             // inBounds & must try again
s_mov_b64 exec, s[64:65]                           // must try again
v_cmp_ne_u32 s[58:59], v138, v139                  // c read during atomic != c read during prior load
s_and_b64 s[64:65], s[58:59], s[64:65]             // inBounds & must try again
	;; [unrolled: 3-line block ×12, first 2 shown]

/* or masks to check for exit */
s_mov_b64 s[58:59], 0x0                            // empty mask
s_or_b64 s[58:59], s[62:63], s[58:59]              // or to add threads
s_or_b64 s[58:59], s[64:65], s[58:59]              // or to add threads
	;; [unrolled: 1-line block ×12, first 2 shown]
s_or_saveexec_b64 s[60:61], s[58:59]               // apply combined mask
s_cbranch_execnz label_0099                        // try again if not complete
label_0100:
s_mov_b64 exec, -1                                 // full mask -> exec
/* optSingleColVgpr=0 optSharedColVgpr=0 optSGPRUsage=None optSrdIncForRow=0 */

/******************************************/
/* Global Write Alpha Edge Batch #2 (d1,d0,vc1,vc0) = */
/*    (0,0,3,0:vw2:vaw:2); (0,0,3,2:vw2:vaw:2); (0,1,3,0:vw2:vaw:2); (0,1,3,2:vw2:vaw:2); (0,2,3,0:vw2:vaw:2); (0,2,3,2:vw2:vaw:2); (0,3,3,0:vw2:vaw:2); (0,3,3,2:vw2:vaw:2); (1,0,0,0:vw2:vaw:2); (1,0,0,2:vw2:vaw:2); (1,1,0,0:vw2:vaw:2); (1,1,0,2:vw2:vaw:2) */
/******************************************/

/* calc coords, apply mask, and issue loads (if necessary) */
/* (d1,vc1,d0,vc0)=(0,3,0,0) */
_v_add_co_u32 v129, vcc, v129, 1                   // coord1.1: coord1Vgpr += d1*sg1*VW + vc1

/* Fix for UseInitialStridesCD, emitAddressSetupCode */
_v_add_u32 v130, v130, s[sgprStrideC1J]            // ROWINC- Move cinRowPtr to next row
_v_add_u32 v131, v131, s[sgprStrideD1J]            // Move coutRowPtr to next row
v_cmp_lt_u32 s[58:59], v128, s[sgprSizeI]          // coord0 < size0
v_cmp_lt_u32 s[62:63], v129, s[sgprSizeJ]          // coord1 < size1
s_and_b64 s[62:63], s[58:59], s[62:63]             // in0 && in1
_v_add_lshl_u32 v134, v131, v128, 0x1              // scaleToBpe: accumulate d0 lower and *= bpe into Cin addr
v_cndmask_b32 v134, -1, v134, s[62:63]             // LDD clip if OOB. offset
_buffer_load_b32 v137, v134, s[sgprSrdD:sgprSrdD+3], 0, offen offset:0 // load D (atomic) bpm=4 vaw=2
/* (d1,vc1,d0,vc0)=(0,3,0,2) */
_v_add_co_u32 v132, vcc, v128, 2                   // coord0.1: coord0 += d0*sg0*VW + vc0
v_cmp_lt_u32 s[58:59], v132, s[sgprSizeI]          // coord0 < size0
v_cmp_lt_u32 s[64:65], v129, s[sgprSizeJ]          // coord1 < size1
s_and_b64 s[64:65], s[58:59], s[64:65]             // in0 && in1
_v_add_lshl_u32 v135, v131, v132, 0x1              // scaleToBpe: accumulate d0 lower and *= bpe into Cin addr
v_cndmask_b32 v135, -1, v135, s[64:65]             // LDD clip if OOB. offset
_buffer_load_b32 v139, v135, s[sgprSrdD:sgprSrdD+3], 0, offen offset:0 // load D (atomic) bpm=4 vaw=2
/* (d1,vc1,d0,vc0)=(0,3,1,0) */
_v_add_co_u32 v132, vcc, v128, 64                  // coord0.1: coord0 += d0*sg0*VW + vc0
v_cmp_lt_u32 s[58:59], v132, s[sgprSizeI]          // coord0 < size0
v_cmp_lt_u32 s[66:67], v129, s[sgprSizeJ]          // coord1 < size1
s_and_b64 s[66:67], s[58:59], s[66:67]             // in0 && in1
_v_add_lshl_u32 v140, v131, v132, 0x1              // scaleToBpe: accumulate d0 lower and *= bpe into Cin addr
v_cndmask_b32 v140, -1, v140, s[66:67]             // LDD clip if OOB. offset
_buffer_load_b32 v143, v140, s[sgprSrdD:sgprSrdD+3], 0, offen offset:0 // load D (atomic) bpm=4 vaw=2
/* (d1,vc1,d0,vc0)=(0,3,1,2) */
s_mov_b32 s58, 66                                  // coordOffset0 d0=1 vc0=2
_v_add_co_u32 v132, vcc, v128, s58                 // coord0.2: coord0 += d0*sg0*VW + vc0
v_cmp_lt_u32 s[58:59], v132, s[sgprSizeI]          // coord0 < size0
v_cmp_lt_u32 s[68:69], v129, s[sgprSizeJ]          // coord1 < size1
s_and_b64 s[68:69], s[58:59], s[68:69]             // in0 && in1
_v_add_lshl_u32 v141, v131, v132, 0x1              // scaleToBpe: accumulate d0 lower and *= bpe into Cin addr
v_cndmask_b32 v141, -1, v141, s[68:69]             // LDD clip if OOB. offset
_buffer_load_b32 v145, v141, s[sgprSrdD:sgprSrdD+3], 0, offen offset:0 // load D (atomic) bpm=4 vaw=2
/* (d1,vc1,d0,vc0)=(0,3,2,0) */
s_mov_b32 s58, 128                                 // coordOffset0 d0=2 vc0=0
_v_add_co_u32 v132, vcc, v128, s58                 // coord0.2: coord0 += d0*sg0*VW + vc0
v_cmp_lt_u32 s[58:59], v132, s[sgprSizeI]          // coord0 < size0
v_cmp_lt_u32 s[70:71], v129, s[sgprSizeJ]          // coord1 < size1
s_and_b64 s[70:71], s[58:59], s[70:71]             // in0 && in1
_v_add_lshl_u32 v146, v131, v132, 0x1              // scaleToBpe: accumulate d0 lower and *= bpe into Cin addr
v_cndmask_b32 v146, -1, v146, s[70:71]             // LDD clip if OOB. offset
_buffer_load_b32 v149, v146, s[sgprSrdD:sgprSrdD+3], 0, offen offset:0 // load D (atomic) bpm=4 vaw=2
/* (d1,vc1,d0,vc0)=(0,3,2,2) */
s_mov_b32 s58, 130                                 // coordOffset0 d0=2 vc0=2
	;; [unrolled: 9-line block ×4, first 2 shown]
_v_add_co_u32 v132, vcc, v128, s58                 // coord0.2: coord0 += d0*sg0*VW + vc0
v_cmp_lt_u32 s[58:59], v132, s[sgprSizeI]          // coord0 < size0
v_cmp_lt_u32 s[76:77], v129, s[sgprSizeJ]          // coord1 < size1
s_and_b64 s[76:77], s[58:59], s[76:77]             // in0 && in1
_v_add_lshl_u32 v153, v131, v132, 0x1              // scaleToBpe: accumulate d0 lower and *= bpe into Cin addr
v_cndmask_b32 v153, -1, v153, s[76:77]             // LDD clip if OOB. offset
_buffer_load_b32 v157, v153, s[sgprSrdD:sgprSrdD+3], 0, offen offset:0 // load D (atomic) bpm=4 vaw=2
/* (d1,vc1,d0,vc0)=(1,0,0,0) */
_v_add_co_u32 v129, vcc, v129, 61                  // coord1.1: coord1Vgpr += d1*sg1*VW + vc1

/* Fix for UseInitialStridesCD, emitAddressSetupCode */
s_mul_i32 s58, s[sgprStrideC1J], 61                // scale stride
_v_add_u32 v130, v130, s58                         // ROWINC- Move cinRowPtr to next row
s_mul_i32 s58, s[sgprStrideD1J], 61                // scale stride
_v_add_u32 v131, v131, s58                         // Move coutRowPtr to next row
v_cmp_lt_u32 s[58:59], v128, s[sgprSizeI]          // coord0 < size0
v_cmp_lt_u32 s[78:79], v129, s[sgprSizeJ]          // coord1 < size1
s_and_b64 s[78:79], s[58:59], s[78:79]             // in0 && in1
_v_add_lshl_u32 v158, v131, v128, 0x1              // scaleToBpe: accumulate d0 lower and *= bpe into Cin addr
v_cndmask_b32 v158, -1, v158, s[78:79]             // LDD clip if OOB. offset
_buffer_load_b32 v161, v158, s[sgprSrdD:sgprSrdD+3], 0, offen offset:0 // load D (atomic) bpm=4 vaw=2
/* (d1,vc1,d0,vc0)=(1,0,0,2) */
_v_add_co_u32 v132, vcc, v128, 2                   // coord0.1: coord0 += d0*sg0*VW + vc0
v_cmp_lt_u32 s[58:59], v132, s[sgprSizeI]          // coord0 < size0
v_cmp_lt_u32 s[80:81], v129, s[sgprSizeJ]          // coord1 < size1
s_and_b64 s[80:81], s[58:59], s[80:81]             // in0 && in1
_v_add_lshl_u32 v159, v131, v132, 0x1              // scaleToBpe: accumulate d0 lower and *= bpe into Cin addr
v_cndmask_b32 v159, -1, v159, s[80:81]             // LDD clip if OOB. offset
_buffer_load_b32 v163, v159, s[sgprSrdD:sgprSrdD+3], 0, offen offset:0 // load D (atomic) bpm=4 vaw=2
/* (d1,vc1,d0,vc0)=(1,0,1,0) */
_v_add_co_u32 v132, vcc, v128, 64                  // coord0.1: coord0 += d0*sg0*VW + vc0
v_cmp_lt_u32 s[58:59], v132, s[sgprSizeI]          // coord0 < size0
v_cmp_lt_u32 s[82:83], v129, s[sgprSizeJ]          // coord1 < size1
s_and_b64 s[82:83], s[58:59], s[82:83]             // in0 && in1
_v_add_lshl_u32 v164, v131, v132, 0x1              // scaleToBpe: accumulate d0 lower and *= bpe into Cin addr
v_cndmask_b32 v164, -1, v164, s[82:83]             // LDD clip if OOB. offset
_buffer_load_b32 v167, v164, s[sgprSrdD:sgprSrdD+3], 0, offen offset:0 // load D (atomic) bpm=4 vaw=2
/* (d1,vc1,d0,vc0)=(1,0,1,2) */
s_mov_b32 s58, 66                                  // coordOffset0 d0=1 vc0=2
_v_add_co_u32 v132, vcc, v128, s58                 // coord0.2: coord0 += d0*sg0*VW + vc0
v_cmp_lt_u32 s[58:59], v132, s[sgprSizeI]          // coord0 < size0
v_cmp_lt_u32 s[84:85], v129, s[sgprSizeJ]          // coord1 < size1
s_and_b64 s[84:85], s[58:59], s[84:85]             // in0 && in1
_v_add_lshl_u32 v165, v131, v132, 0x1              // scaleToBpe: accumulate d0 lower and *= bpe into Cin addr
v_cndmask_b32 v165, -1, v165, s[84:85]             // LDD clip if OOB. offset
_buffer_load_b32 v169, v165, s[sgprSrdD:sgprSrdD+3], 0, offen offset:0 // load D (atomic) bpm=4 vaw=2

/* rC *= alpha batchElements=[(0, 0, 3, 0), (0, 0, 3, 2), (0, 1, 3, 0), (0, 1, 3, 2), (0, 2, 3, 0), (0, 2, 3, 2), (0, 3, 3, 0), (0, 3, 3, 2), (1, 0, 0, 0), (1, 0, 0, 2), (1, 1, 0, 0), (1, 1, 0, 2)] */
v_pk_mul_f16 v[vgprValuC+24], s[sgprAlpha], v[vgprValuC+24] // *= alpha sumIdx=48 vi=1
v_pk_mul_f16 v[vgprValuC+25], s[sgprAlpha], v[vgprValuC+25] // *= alpha sumIdx=50 vi=1
	;; [unrolled: 1-line block ×12, first 2 shown]
s_waitcnt vmcnt(0)                                 // wait C (atomic)

/* issue first atomic writes */
s_mov_b64 exec, s[62:63]                           // sgprs -> exec (before atomic)
v_pk_add_f16 v136, v137, v[vgprValuC+24]           // desired value
_buffer_atomic_cmpswap_b32 v[136:137], v134, s[sgprSrdD:sgprSrdD+3] 0 offen offset:0 glc   // attempt write
s_mov_b64 exec, s[64:65]                           // sgprs -> exec (before atomic)
v_pk_add_f16 v138, v139, v[vgprValuC+25]           // desired value
_buffer_atomic_cmpswap_b32 v[138:139], v135, s[sgprSrdD:sgprSrdD+3] 0 offen offset:0 glc   // attempt write
	;; [unrolled: 3-line block ×12, first 2 shown]
s_waitcnt vmcnt(0)                                 // wait for atomic writes

/* check success of writes, update masks */
s_mov_b64 exec, s[62:63]                           // sgprs -> exec
v_cmp_ne_u32 s[58:59], v136, v137                  // c read during atomic != c read during prior load
s_and_b64 s[62:63], s[58:59], s[62:63]             // inBounds & must try again
s_mov_b64 exec, s[64:65]                           // sgprs -> exec
v_cmp_ne_u32 s[58:59], v138, v139                  // c read during atomic != c read during prior load
s_and_b64 s[64:65], s[58:59], s[64:65]             // inBounds & must try again
	;; [unrolled: 3-line block ×12, first 2 shown]

/* or masks to check for exit */
s_mov_b64 s[58:59], 0x0                            // empty mask
s_or_b64 s[58:59], s[62:63], s[58:59]              // or to add threads
s_or_b64 s[58:59], s[64:65], s[58:59]              // or to add threads
	;; [unrolled: 1-line block ×12, first 2 shown]
s_or_saveexec_b64 s[60:61], s[58:59]               // apply combined mask
s_cbranch_execz label_0102                         // if exec is zero skip loop

/* atomic CAS loop */
label_0101:

/* apply updated masks and issue writes again */
s_mov_b64 exec, s[62:63]                           // must try again
v_mov_b32 v137, v136                               // dataV+1 = tmp (new original C)
v_pk_add_f16 v136, v137, v[vgprValuC+24]           // newC = rC + originalC
_buffer_atomic_cmpswap_b32 v[136:137], v134, s[sgprSrdD:sgprSrdD+3] 0 offen offset:0 glc   // attempt write
s_mov_b64 exec, s[64:65]                           // must try again
v_mov_b32 v139, v138                               // dataV+1 = tmp (new original C)
v_pk_add_f16 v138, v139, v[vgprValuC+25]           // newC = rC + originalC
_buffer_atomic_cmpswap_b32 v[138:139], v135, s[sgprSrdD:sgprSrdD+3] 0 offen offset:0 glc   // attempt write
	;; [unrolled: 4-line block ×12, first 2 shown]
s_waitcnt vmcnt(0)                                 // wait for atomic writes

/* apply masks and check for success */
s_mov_b64 exec, s[62:63]                           // must try again
v_cmp_ne_u32 s[58:59], v136, v137                  // c read during atomic != c read during prior load
s_and_b64 s[62:63], s[58:59], s[62:63]             // inBounds & must try again
s_mov_b64 exec, s[64:65]                           // must try again
v_cmp_ne_u32 s[58:59], v138, v139                  // c read during atomic != c read during prior load
s_and_b64 s[64:65], s[58:59], s[64:65]             // inBounds & must try again
	;; [unrolled: 3-line block ×12, first 2 shown]

/* or masks to check for exit */
s_mov_b64 s[58:59], 0x0                            // empty mask
s_or_b64 s[58:59], s[62:63], s[58:59]              // or to add threads
s_or_b64 s[58:59], s[64:65], s[58:59]              // or to add threads
	;; [unrolled: 1-line block ×12, first 2 shown]
s_or_saveexec_b64 s[60:61], s[58:59]               // apply combined mask
s_cbranch_execnz label_0101                        // try again if not complete
label_0102:
s_mov_b64 exec, -1                                 // full mask -> exec
/* optSingleColVgpr=0 optSharedColVgpr=0 optSGPRUsage=None optSrdIncForRow=0 */

/******************************************/
/* Global Write Alpha Edge Batch #3 (d1,d0,vc1,vc0) = */
/*    (1,2,0,0:vw2:vaw:2); (1,2,0,2:vw2:vaw:2); (1,3,0,0:vw2:vaw:2); (1,3,0,2:vw2:vaw:2); (1,0,1,0:vw2:vaw:2); (1,0,1,2:vw2:vaw:2); (1,1,1,0:vw2:vaw:2); (1,1,1,2:vw2:vaw:2); (1,2,1,0:vw2:vaw:2); (1,2,1,2:vw2:vaw:2); (1,3,1,0:vw2:vaw:2); (1,3,1,2:vw2:vaw:2) */
/******************************************/

/* calc coords, apply mask, and issue loads (if necessary) */
/* (d1,vc1,d0,vc0)=(1,0,2,0) */
s_mov_b32 s58, 128                                 // coordOffset0 d0=2 vc0=0
_v_add_co_u32 v132, vcc, v128, s58                 // coord0.2: coord0 += d0*sg0*VW + vc0
v_cmp_lt_u32 s[58:59], v132, s[sgprSizeI]          // coord0 < size0
v_cmp_lt_u32 s[62:63], v129, s[sgprSizeJ]          // coord1 < size1
s_and_b64 s[62:63], s[58:59], s[62:63]             // in0 && in1
_v_add_lshl_u32 v134, v131, v132, 0x1              // scaleToBpe: accumulate d0 lower and *= bpe into Cin addr
v_cndmask_b32 v134, -1, v134, s[62:63]             // LDD clip if OOB. offset
_buffer_load_b32 v137, v134, s[sgprSrdD:sgprSrdD+3], 0, offen offset:0 // load D (atomic) bpm=4 vaw=2
/* (d1,vc1,d0,vc0)=(1,0,2,2) */
s_mov_b32 s58, 130                                 // coordOffset0 d0=2 vc0=2
_v_add_co_u32 v132, vcc, v128, s58                 // coord0.2: coord0 += d0*sg0*VW + vc0
v_cmp_lt_u32 s[58:59], v132, s[sgprSizeI]          // coord0 < size0
v_cmp_lt_u32 s[64:65], v129, s[sgprSizeJ]          // coord1 < size1
s_and_b64 s[64:65], s[58:59], s[64:65]             // in0 && in1
_v_add_lshl_u32 v135, v131, v132, 0x1              // scaleToBpe: accumulate d0 lower and *= bpe into Cin addr
v_cndmask_b32 v135, -1, v135, s[64:65]             // LDD clip if OOB. offset
_buffer_load_b32 v139, v135, s[sgprSrdD:sgprSrdD+3], 0, offen offset:0 // load D (atomic) bpm=4 vaw=2
	;; [unrolled: 9-line block ×4, first 2 shown]
/* (d1,vc1,d0,vc0)=(1,1,0,0) */
_v_add_co_u32 v129, vcc, v129, 1                   // coord1.1: coord1Vgpr += d1*sg1*VW + vc1

/* Fix for UseInitialStridesCD, emitAddressSetupCode */
_v_add_u32 v130, v130, s[sgprStrideC1J]            // ROWINC- Move cinRowPtr to next row
_v_add_u32 v131, v131, s[sgprStrideD1J]            // Move coutRowPtr to next row
v_cmp_lt_u32 s[58:59], v128, s[sgprSizeI]          // coord0 < size0
v_cmp_lt_u32 s[70:71], v129, s[sgprSizeJ]          // coord1 < size1
s_and_b64 s[70:71], s[58:59], s[70:71]             // in0 && in1
_v_add_lshl_u32 v146, v131, v128, 0x1              // scaleToBpe: accumulate d0 lower and *= bpe into Cin addr
v_cndmask_b32 v146, -1, v146, s[70:71]             // LDD clip if OOB. offset
_buffer_load_b32 v149, v146, s[sgprSrdD:sgprSrdD+3], 0, offen offset:0 // load D (atomic) bpm=4 vaw=2
/* (d1,vc1,d0,vc0)=(1,1,0,2) */
_v_add_co_u32 v132, vcc, v128, 2                   // coord0.1: coord0 += d0*sg0*VW + vc0
v_cmp_lt_u32 s[58:59], v132, s[sgprSizeI]          // coord0 < size0
v_cmp_lt_u32 s[72:73], v129, s[sgprSizeJ]          // coord1 < size1
s_and_b64 s[72:73], s[58:59], s[72:73]             // in0 && in1
_v_add_lshl_u32 v147, v131, v132, 0x1              // scaleToBpe: accumulate d0 lower and *= bpe into Cin addr
v_cndmask_b32 v147, -1, v147, s[72:73]             // LDD clip if OOB. offset
_buffer_load_b32 v151, v147, s[sgprSrdD:sgprSrdD+3], 0, offen offset:0 // load D (atomic) bpm=4 vaw=2
/* (d1,vc1,d0,vc0)=(1,1,1,0) */
_v_add_co_u32 v132, vcc, v128, 64                  // coord0.1: coord0 += d0*sg0*VW + vc0
v_cmp_lt_u32 s[58:59], v132, s[sgprSizeI]          // coord0 < size0
v_cmp_lt_u32 s[74:75], v129, s[sgprSizeJ]          // coord1 < size1
s_and_b64 s[74:75], s[58:59], s[74:75]             // in0 && in1
_v_add_lshl_u32 v152, v131, v132, 0x1              // scaleToBpe: accumulate d0 lower and *= bpe into Cin addr
v_cndmask_b32 v152, -1, v152, s[74:75]             // LDD clip if OOB. offset
_buffer_load_b32 v155, v152, s[sgprSrdD:sgprSrdD+3], 0, offen offset:0 // load D (atomic) bpm=4 vaw=2
/* (d1,vc1,d0,vc0)=(1,1,1,2) */
s_mov_b32 s58, 66                                  // coordOffset0 d0=1 vc0=2
_v_add_co_u32 v132, vcc, v128, s58                 // coord0.2: coord0 += d0*sg0*VW + vc0
v_cmp_lt_u32 s[58:59], v132, s[sgprSizeI]          // coord0 < size0
v_cmp_lt_u32 s[76:77], v129, s[sgprSizeJ]          // coord1 < size1
s_and_b64 s[76:77], s[58:59], s[76:77]             // in0 && in1
_v_add_lshl_u32 v153, v131, v132, 0x1              // scaleToBpe: accumulate d0 lower and *= bpe into Cin addr
v_cndmask_b32 v153, -1, v153, s[76:77]             // LDD clip if OOB. offset
_buffer_load_b32 v157, v153, s[sgprSrdD:sgprSrdD+3], 0, offen offset:0 // load D (atomic) bpm=4 vaw=2
/* (d1,vc1,d0,vc0)=(1,1,2,0) */
s_mov_b32 s58, 128                                 // coordOffset0 d0=2 vc0=0
_v_add_co_u32 v132, vcc, v128, s58                 // coord0.2: coord0 += d0*sg0*VW + vc0
v_cmp_lt_u32 s[58:59], v132, s[sgprSizeI]          // coord0 < size0
v_cmp_lt_u32 s[78:79], v129, s[sgprSizeJ]          // coord1 < size1
s_and_b64 s[78:79], s[58:59], s[78:79]             // in0 && in1
_v_add_lshl_u32 v158, v131, v132, 0x1              // scaleToBpe: accumulate d0 lower and *= bpe into Cin addr
v_cndmask_b32 v158, -1, v158, s[78:79]             // LDD clip if OOB. offset
_buffer_load_b32 v161, v158, s[sgprSrdD:sgprSrdD+3], 0, offen offset:0 // load D (atomic) bpm=4 vaw=2
/* (d1,vc1,d0,vc0)=(1,1,2,2) */
s_mov_b32 s58, 130                                 // coordOffset0 d0=2 vc0=2
_v_add_co_u32 v132, vcc, v128, s58                 // coord0.2: coord0 += d0*sg0*VW + vc0
v_cmp_lt_u32 s[58:59], v132, s[sgprSizeI]          // coord0 < size0
v_cmp_lt_u32 s[80:81], v129, s[sgprSizeJ]          // coord1 < size1
s_and_b64 s[80:81], s[58:59], s[80:81]             // in0 && in1
_v_add_lshl_u32 v159, v131, v132, 0x1              // scaleToBpe: accumulate d0 lower and *= bpe into Cin addr
v_cndmask_b32 v159, -1, v159, s[80:81]             // LDD clip if OOB. offset
_buffer_load_b32 v163, v159, s[sgprSrdD:sgprSrdD+3], 0, offen offset:0 // load D (atomic) bpm=4 vaw=2
/* (d1,vc1,d0,vc0)=(1,1,3,0) */
s_mov_b32 s58, 192                                 // coordOffset0 d0=3 vc0=0
_v_add_co_u32 v132, vcc, v128, s58                 // coord0.2: coord0 += d0*sg0*VW + vc0
v_cmp_lt_u32 s[58:59], v132, s[sgprSizeI]          // coord0 < size0
v_cmp_lt_u32 s[82:83], v129, s[sgprSizeJ]          // coord1 < size1
s_and_b64 s[82:83], s[58:59], s[82:83]             // in0 && in1
_v_add_lshl_u32 v164, v131, v132, 0x1              // scaleToBpe: accumulate d0 lower and *= bpe into Cin addr
v_cndmask_b32 v164, -1, v164, s[82:83]             // LDD clip if OOB. offset
_buffer_load_b32 v167, v164, s[sgprSrdD:sgprSrdD+3], 0, offen offset:0 // load D (atomic) bpm=4 vaw=2
/* (d1,vc1,d0,vc0)=(1,1,3,2) */
s_mov_b32 s58, 194                                 // coordOffset0 d0=3 vc0=2
_v_add_co_u32 v132, vcc, v128, s58                 // coord0.2: coord0 += d0*sg0*VW + vc0
v_cmp_lt_u32 s[58:59], v132, s[sgprSizeI]          // coord0 < size0
v_cmp_lt_u32 s[84:85], v129, s[sgprSizeJ]          // coord1 < size1
s_and_b64 s[84:85], s[58:59], s[84:85]             // in0 && in1
_v_add_lshl_u32 v165, v131, v132, 0x1              // scaleToBpe: accumulate d0 lower and *= bpe into Cin addr
v_cndmask_b32 v165, -1, v165, s[84:85]             // LDD clip if OOB. offset
_buffer_load_b32 v169, v165, s[sgprSrdD:sgprSrdD+3], 0, offen offset:0 // load D (atomic) bpm=4 vaw=2

/* rC *= alpha batchElements=[(1, 2, 0, 0), (1, 2, 0, 2), (1, 3, 0, 0), (1, 3, 0, 2), (1, 0, 1, 0), (1, 0, 1, 2), (1, 1, 1, 0), (1, 1, 1, 2), (1, 2, 1, 0), (1, 2, 1, 2), (1, 3, 1, 0), (1, 3, 1, 2)] */
v_pk_mul_f16 v[vgprValuC+36], s[sgprAlpha], v[vgprValuC+36] // *= alpha sumIdx=72 vi=1
v_pk_mul_f16 v[vgprValuC+37], s[sgprAlpha], v[vgprValuC+37] // *= alpha sumIdx=74 vi=1
v_pk_mul_f16 v[vgprValuC+38], s[sgprAlpha], v[vgprValuC+38] // *= alpha sumIdx=76 vi=1
v_pk_mul_f16 v[vgprValuC+39], s[sgprAlpha], v[vgprValuC+39] // *= alpha sumIdx=78 vi=1
v_pk_mul_f16 v[vgprValuC+40], s[sgprAlpha], v[vgprValuC+40] // *= alpha sumIdx=80 vi=1
v_pk_mul_f16 v[vgprValuC+41], s[sgprAlpha], v[vgprValuC+41] // *= alpha sumIdx=82 vi=1
v_pk_mul_f16 v[vgprValuC+42], s[sgprAlpha], v[vgprValuC+42] // *= alpha sumIdx=84 vi=1
v_pk_mul_f16 v[vgprValuC+43], s[sgprAlpha], v[vgprValuC+43] // *= alpha sumIdx=86 vi=1
v_pk_mul_f16 v[vgprValuC+44], s[sgprAlpha], v[vgprValuC+44] // *= alpha sumIdx=88 vi=1
v_pk_mul_f16 v[vgprValuC+45], s[sgprAlpha], v[vgprValuC+45] // *= alpha sumIdx=90 vi=1
v_pk_mul_f16 v[vgprValuC+46], s[sgprAlpha], v[vgprValuC+46] // *= alpha sumIdx=92 vi=1
v_pk_mul_f16 v[vgprValuC+47], s[sgprAlpha], v[vgprValuC+47] // *= alpha sumIdx=94 vi=1
s_waitcnt vmcnt(0)                                 // wait C (atomic)

/* issue first atomic writes */
s_mov_b64 exec, s[62:63]                           // sgprs -> exec (before atomic)
v_pk_add_f16 v136, v137, v[vgprValuC+36]           // desired value
_buffer_atomic_cmpswap_b32 v[136:137], v134, s[sgprSrdD:sgprSrdD+3] 0 offen offset:0 glc   // attempt write
s_mov_b64 exec, s[64:65]                           // sgprs -> exec (before atomic)
v_pk_add_f16 v138, v139, v[vgprValuC+37]           // desired value
_buffer_atomic_cmpswap_b32 v[138:139], v135, s[sgprSrdD:sgprSrdD+3] 0 offen offset:0 glc   // attempt write
s_mov_b64 exec, s[66:67]                           // sgprs -> exec (before atomic)
v_pk_add_f16 v142, v143, v[vgprValuC+38]           // desired value
_buffer_atomic_cmpswap_b32 v[142:143], v140, s[sgprSrdD:sgprSrdD+3] 0 offen offset:0 glc   // attempt write
s_mov_b64 exec, s[68:69]                           // sgprs -> exec (before atomic)
v_pk_add_f16 v144, v145, v[vgprValuC+39]           // desired value
_buffer_atomic_cmpswap_b32 v[144:145], v141, s[sgprSrdD:sgprSrdD+3] 0 offen offset:0 glc   // attempt write
s_mov_b64 exec, s[70:71]                           // sgprs -> exec (before atomic)
v_pk_add_f16 v148, v149, v[vgprValuC+40]           // desired value
_buffer_atomic_cmpswap_b32 v[148:149], v146, s[sgprSrdD:sgprSrdD+3] 0 offen offset:0 glc   // attempt write
s_mov_b64 exec, s[72:73]                           // sgprs -> exec (before atomic)
v_pk_add_f16 v150, v151, v[vgprValuC+41]           // desired value
_buffer_atomic_cmpswap_b32 v[150:151], v147, s[sgprSrdD:sgprSrdD+3] 0 offen offset:0 glc   // attempt write
s_mov_b64 exec, s[74:75]                           // sgprs -> exec (before atomic)
v_pk_add_f16 v154, v155, v[vgprValuC+42]           // desired value
_buffer_atomic_cmpswap_b32 v[154:155], v152, s[sgprSrdD:sgprSrdD+3] 0 offen offset:0 glc   // attempt write
s_mov_b64 exec, s[76:77]                           // sgprs -> exec (before atomic)
v_pk_add_f16 v156, v157, v[vgprValuC+43]           // desired value
_buffer_atomic_cmpswap_b32 v[156:157], v153, s[sgprSrdD:sgprSrdD+3] 0 offen offset:0 glc   // attempt write
s_mov_b64 exec, s[78:79]                           // sgprs -> exec (before atomic)
v_pk_add_f16 v160, v161, v[vgprValuC+44]           // desired value
_buffer_atomic_cmpswap_b32 v[160:161], v158, s[sgprSrdD:sgprSrdD+3] 0 offen offset:0 glc   // attempt write
s_mov_b64 exec, s[80:81]                           // sgprs -> exec (before atomic)
v_pk_add_f16 v162, v163, v[vgprValuC+45]           // desired value
_buffer_atomic_cmpswap_b32 v[162:163], v159, s[sgprSrdD:sgprSrdD+3] 0 offen offset:0 glc   // attempt write
s_mov_b64 exec, s[82:83]                           // sgprs -> exec (before atomic)
v_pk_add_f16 v166, v167, v[vgprValuC+46]           // desired value
_buffer_atomic_cmpswap_b32 v[166:167], v164, s[sgprSrdD:sgprSrdD+3] 0 offen offset:0 glc   // attempt write
s_mov_b64 exec, s[84:85]                           // sgprs -> exec (before atomic)
v_pk_add_f16 v168, v169, v[vgprValuC+47]           // desired value
_buffer_atomic_cmpswap_b32 v[168:169], v165, s[sgprSrdD:sgprSrdD+3] 0 offen offset:0 glc   // attempt write
s_waitcnt vmcnt(0)                                 // wait for atomic writes

/* check success of writes, update masks */
s_mov_b64 exec, s[62:63]                           // sgprs -> exec
v_cmp_ne_u32 s[58:59], v136, v137                  // c read during atomic != c read during prior load
s_and_b64 s[62:63], s[58:59], s[62:63]             // inBounds & must try again
s_mov_b64 exec, s[64:65]                           // sgprs -> exec
v_cmp_ne_u32 s[58:59], v138, v139                  // c read during atomic != c read during prior load
s_and_b64 s[64:65], s[58:59], s[64:65]             // inBounds & must try again
	;; [unrolled: 3-line block ×12, first 2 shown]

/* or masks to check for exit */
s_mov_b64 s[58:59], 0x0                            // empty mask
s_or_b64 s[58:59], s[62:63], s[58:59]              // or to add threads
s_or_b64 s[58:59], s[64:65], s[58:59]              // or to add threads
	;; [unrolled: 1-line block ×12, first 2 shown]
s_or_saveexec_b64 s[60:61], s[58:59]               // apply combined mask
s_cbranch_execz label_0104                         // if exec is zero skip loop

/* atomic CAS loop */
label_0103:

/* apply updated masks and issue writes again */
s_mov_b64 exec, s[62:63]                           // must try again
v_mov_b32 v137, v136                               // dataV+1 = tmp (new original C)
v_pk_add_f16 v136, v137, v[vgprValuC+36]           // newC = rC + originalC
_buffer_atomic_cmpswap_b32 v[136:137], v134, s[sgprSrdD:sgprSrdD+3] 0 offen offset:0 glc   // attempt write
s_mov_b64 exec, s[64:65]                           // must try again
v_mov_b32 v139, v138                               // dataV+1 = tmp (new original C)
v_pk_add_f16 v138, v139, v[vgprValuC+37]           // newC = rC + originalC
_buffer_atomic_cmpswap_b32 v[138:139], v135, s[sgprSrdD:sgprSrdD+3] 0 offen offset:0 glc   // attempt write
	;; [unrolled: 4-line block ×12, first 2 shown]
s_waitcnt vmcnt(0)                                 // wait for atomic writes

/* apply masks and check for success */
s_mov_b64 exec, s[62:63]                           // must try again
v_cmp_ne_u32 s[58:59], v136, v137                  // c read during atomic != c read during prior load
s_and_b64 s[62:63], s[58:59], s[62:63]             // inBounds & must try again
s_mov_b64 exec, s[64:65]                           // must try again
v_cmp_ne_u32 s[58:59], v138, v139                  // c read during atomic != c read during prior load
s_and_b64 s[64:65], s[58:59], s[64:65]             // inBounds & must try again
	;; [unrolled: 3-line block ×12, first 2 shown]

/* or masks to check for exit */
s_mov_b64 s[58:59], 0x0                            // empty mask
s_or_b64 s[58:59], s[62:63], s[58:59]              // or to add threads
s_or_b64 s[58:59], s[64:65], s[58:59]              // or to add threads
	;; [unrolled: 1-line block ×12, first 2 shown]
s_or_saveexec_b64 s[60:61], s[58:59]               // apply combined mask
s_cbranch_execnz label_0103                        // try again if not complete
label_0104:
s_mov_b64 exec, -1                                 // full mask -> exec
/* optSingleColVgpr=0 optSharedColVgpr=0 optSGPRUsage=None optSrdIncForRow=0 */

/******************************************/
/* Global Write Alpha Edge Batch #4 (d1,d0,vc1,vc0) = */
/*    (1,0,2,0:vw2:vaw:2); (1,0,2,2:vw2:vaw:2); (1,1,2,0:vw2:vaw:2); (1,1,2,2:vw2:vaw:2); (1,2,2,0:vw2:vaw:2); (1,2,2,2:vw2:vaw:2); (1,3,2,0:vw2:vaw:2); (1,3,2,2:vw2:vaw:2); (1,0,3,0:vw2:vaw:2); (1,0,3,2:vw2:vaw:2); (1,1,3,0:vw2:vaw:2); (1,1,3,2:vw2:vaw:2) */
/******************************************/

/* calc coords, apply mask, and issue loads (if necessary) */
/* (d1,vc1,d0,vc0)=(1,2,0,0) */
_v_add_co_u32 v129, vcc, v129, 1                   // coord1.1: coord1Vgpr += d1*sg1*VW + vc1

/* Fix for UseInitialStridesCD, emitAddressSetupCode */
_v_add_u32 v130, v130, s[sgprStrideC1J]            // ROWINC- Move cinRowPtr to next row
_v_add_u32 v131, v131, s[sgprStrideD1J]            // Move coutRowPtr to next row
v_cmp_lt_u32 s[58:59], v128, s[sgprSizeI]          // coord0 < size0
v_cmp_lt_u32 s[62:63], v129, s[sgprSizeJ]          // coord1 < size1
s_and_b64 s[62:63], s[58:59], s[62:63]             // in0 && in1
_v_add_lshl_u32 v134, v131, v128, 0x1              // scaleToBpe: accumulate d0 lower and *= bpe into Cin addr
v_cndmask_b32 v134, -1, v134, s[62:63]             // LDD clip if OOB. offset
_buffer_load_b32 v137, v134, s[sgprSrdD:sgprSrdD+3], 0, offen offset:0 // load D (atomic) bpm=4 vaw=2
/* (d1,vc1,d0,vc0)=(1,2,0,2) */
_v_add_co_u32 v132, vcc, v128, 2                   // coord0.1: coord0 += d0*sg0*VW + vc0
v_cmp_lt_u32 s[58:59], v132, s[sgprSizeI]          // coord0 < size0
v_cmp_lt_u32 s[64:65], v129, s[sgprSizeJ]          // coord1 < size1
s_and_b64 s[64:65], s[58:59], s[64:65]             // in0 && in1
_v_add_lshl_u32 v135, v131, v132, 0x1              // scaleToBpe: accumulate d0 lower and *= bpe into Cin addr
v_cndmask_b32 v135, -1, v135, s[64:65]             // LDD clip if OOB. offset
_buffer_load_b32 v139, v135, s[sgprSrdD:sgprSrdD+3], 0, offen offset:0 // load D (atomic) bpm=4 vaw=2
/* (d1,vc1,d0,vc0)=(1,2,1,0) */
_v_add_co_u32 v132, vcc, v128, 64                  // coord0.1: coord0 += d0*sg0*VW + vc0
v_cmp_lt_u32 s[58:59], v132, s[sgprSizeI]          // coord0 < size0
v_cmp_lt_u32 s[66:67], v129, s[sgprSizeJ]          // coord1 < size1
s_and_b64 s[66:67], s[58:59], s[66:67]             // in0 && in1
_v_add_lshl_u32 v140, v131, v132, 0x1              // scaleToBpe: accumulate d0 lower and *= bpe into Cin addr
v_cndmask_b32 v140, -1, v140, s[66:67]             // LDD clip if OOB. offset
_buffer_load_b32 v143, v140, s[sgprSrdD:sgprSrdD+3], 0, offen offset:0 // load D (atomic) bpm=4 vaw=2
/* (d1,vc1,d0,vc0)=(1,2,1,2) */
s_mov_b32 s58, 66                                  // coordOffset0 d0=1 vc0=2
_v_add_co_u32 v132, vcc, v128, s58                 // coord0.2: coord0 += d0*sg0*VW + vc0
v_cmp_lt_u32 s[58:59], v132, s[sgprSizeI]          // coord0 < size0
v_cmp_lt_u32 s[68:69], v129, s[sgprSizeJ]          // coord1 < size1
s_and_b64 s[68:69], s[58:59], s[68:69]             // in0 && in1
_v_add_lshl_u32 v141, v131, v132, 0x1              // scaleToBpe: accumulate d0 lower and *= bpe into Cin addr
v_cndmask_b32 v141, -1, v141, s[68:69]             // LDD clip if OOB. offset
_buffer_load_b32 v145, v141, s[sgprSrdD:sgprSrdD+3], 0, offen offset:0 // load D (atomic) bpm=4 vaw=2
/* (d1,vc1,d0,vc0)=(1,2,2,0) */
s_mov_b32 s58, 128                                 // coordOffset0 d0=2 vc0=0
_v_add_co_u32 v132, vcc, v128, s58                 // coord0.2: coord0 += d0*sg0*VW + vc0
v_cmp_lt_u32 s[58:59], v132, s[sgprSizeI]          // coord0 < size0
v_cmp_lt_u32 s[70:71], v129, s[sgprSizeJ]          // coord1 < size1
s_and_b64 s[70:71], s[58:59], s[70:71]             // in0 && in1
_v_add_lshl_u32 v146, v131, v132, 0x1              // scaleToBpe: accumulate d0 lower and *= bpe into Cin addr
v_cndmask_b32 v146, -1, v146, s[70:71]             // LDD clip if OOB. offset
_buffer_load_b32 v149, v146, s[sgprSrdD:sgprSrdD+3], 0, offen offset:0 // load D (atomic) bpm=4 vaw=2
/* (d1,vc1,d0,vc0)=(1,2,2,2) */
s_mov_b32 s58, 130                                 // coordOffset0 d0=2 vc0=2
	;; [unrolled: 9-line block ×4, first 2 shown]
_v_add_co_u32 v132, vcc, v128, s58                 // coord0.2: coord0 += d0*sg0*VW + vc0
v_cmp_lt_u32 s[58:59], v132, s[sgprSizeI]          // coord0 < size0
v_cmp_lt_u32 s[76:77], v129, s[sgprSizeJ]          // coord1 < size1
s_and_b64 s[76:77], s[58:59], s[76:77]             // in0 && in1
_v_add_lshl_u32 v153, v131, v132, 0x1              // scaleToBpe: accumulate d0 lower and *= bpe into Cin addr
v_cndmask_b32 v153, -1, v153, s[76:77]             // LDD clip if OOB. offset
_buffer_load_b32 v157, v153, s[sgprSrdD:sgprSrdD+3], 0, offen offset:0 // load D (atomic) bpm=4 vaw=2
/* (d1,vc1,d0,vc0)=(1,3,0,0) */
_v_add_co_u32 v129, vcc, v129, 1                   // coord1.1: coord1Vgpr += d1*sg1*VW + vc1

/* Fix for UseInitialStridesCD, emitAddressSetupCode */
_v_add_u32 v130, v130, s[sgprStrideC1J]            // ROWINC- Move cinRowPtr to next row
_v_add_u32 v131, v131, s[sgprStrideD1J]            // Move coutRowPtr to next row
v_cmp_lt_u32 s[58:59], v128, s[sgprSizeI]          // coord0 < size0
v_cmp_lt_u32 s[78:79], v129, s[sgprSizeJ]          // coord1 < size1
s_and_b64 s[78:79], s[58:59], s[78:79]             // in0 && in1
_v_add_lshl_u32 v158, v131, v128, 0x1              // scaleToBpe: accumulate d0 lower and *= bpe into Cin addr
v_cndmask_b32 v158, -1, v158, s[78:79]             // LDD clip if OOB. offset
_buffer_load_b32 v161, v158, s[sgprSrdD:sgprSrdD+3], 0, offen offset:0 // load D (atomic) bpm=4 vaw=2
/* (d1,vc1,d0,vc0)=(1,3,0,2) */
_v_add_co_u32 v132, vcc, v128, 2                   // coord0.1: coord0 += d0*sg0*VW + vc0
v_cmp_lt_u32 s[58:59], v132, s[sgprSizeI]          // coord0 < size0
v_cmp_lt_u32 s[80:81], v129, s[sgprSizeJ]          // coord1 < size1
s_and_b64 s[80:81], s[58:59], s[80:81]             // in0 && in1
_v_add_lshl_u32 v159, v131, v132, 0x1              // scaleToBpe: accumulate d0 lower and *= bpe into Cin addr
v_cndmask_b32 v159, -1, v159, s[80:81]             // LDD clip if OOB. offset
_buffer_load_b32 v163, v159, s[sgprSrdD:sgprSrdD+3], 0, offen offset:0 // load D (atomic) bpm=4 vaw=2
/* (d1,vc1,d0,vc0)=(1,3,1,0) */
_v_add_co_u32 v132, vcc, v128, 64                  // coord0.1: coord0 += d0*sg0*VW + vc0
v_cmp_lt_u32 s[58:59], v132, s[sgprSizeI]          // coord0 < size0
v_cmp_lt_u32 s[82:83], v129, s[sgprSizeJ]          // coord1 < size1
s_and_b64 s[82:83], s[58:59], s[82:83]             // in0 && in1
_v_add_lshl_u32 v164, v131, v132, 0x1              // scaleToBpe: accumulate d0 lower and *= bpe into Cin addr
v_cndmask_b32 v164, -1, v164, s[82:83]             // LDD clip if OOB. offset
_buffer_load_b32 v167, v164, s[sgprSrdD:sgprSrdD+3], 0, offen offset:0 // load D (atomic) bpm=4 vaw=2
/* (d1,vc1,d0,vc0)=(1,3,1,2) */
s_mov_b32 s58, 66                                  // coordOffset0 d0=1 vc0=2
_v_add_co_u32 v132, vcc, v128, s58                 // coord0.2: coord0 += d0*sg0*VW + vc0
v_cmp_lt_u32 s[58:59], v132, s[sgprSizeI]          // coord0 < size0
v_cmp_lt_u32 s[84:85], v129, s[sgprSizeJ]          // coord1 < size1
s_and_b64 s[84:85], s[58:59], s[84:85]             // in0 && in1
_v_add_lshl_u32 v165, v131, v132, 0x1              // scaleToBpe: accumulate d0 lower and *= bpe into Cin addr
v_cndmask_b32 v165, -1, v165, s[84:85]             // LDD clip if OOB. offset
_buffer_load_b32 v169, v165, s[sgprSrdD:sgprSrdD+3], 0, offen offset:0 // load D (atomic) bpm=4 vaw=2

/* rC *= alpha batchElements=[(1, 0, 2, 0), (1, 0, 2, 2), (1, 1, 2, 0), (1, 1, 2, 2), (1, 2, 2, 0), (1, 2, 2, 2), (1, 3, 2, 0), (1, 3, 2, 2), (1, 0, 3, 0), (1, 0, 3, 2), (1, 1, 3, 0), (1, 1, 3, 2)] */
v_pk_mul_f16 v[vgprValuC+48], s[sgprAlpha], v[vgprValuC+48] // *= alpha sumIdx=96 vi=1
v_pk_mul_f16 v[vgprValuC+49], s[sgprAlpha], v[vgprValuC+49] // *= alpha sumIdx=98 vi=1
	;; [unrolled: 1-line block ×12, first 2 shown]
s_waitcnt vmcnt(0)                                 // wait C (atomic)

/* issue first atomic writes */
s_mov_b64 exec, s[62:63]                           // sgprs -> exec (before atomic)
v_pk_add_f16 v136, v137, v[vgprValuC+48]           // desired value
_buffer_atomic_cmpswap_b32 v[136:137], v134, s[sgprSrdD:sgprSrdD+3] 0 offen offset:0 glc   // attempt write
s_mov_b64 exec, s[64:65]                           // sgprs -> exec (before atomic)
v_pk_add_f16 v138, v139, v[vgprValuC+49]           // desired value
_buffer_atomic_cmpswap_b32 v[138:139], v135, s[sgprSrdD:sgprSrdD+3] 0 offen offset:0 glc   // attempt write
	;; [unrolled: 3-line block ×12, first 2 shown]
s_waitcnt vmcnt(0)                                 // wait for atomic writes

/* check success of writes, update masks */
s_mov_b64 exec, s[62:63]                           // sgprs -> exec
v_cmp_ne_u32 s[58:59], v136, v137                  // c read during atomic != c read during prior load
s_and_b64 s[62:63], s[58:59], s[62:63]             // inBounds & must try again
s_mov_b64 exec, s[64:65]                           // sgprs -> exec
v_cmp_ne_u32 s[58:59], v138, v139                  // c read during atomic != c read during prior load
s_and_b64 s[64:65], s[58:59], s[64:65]             // inBounds & must try again
	;; [unrolled: 3-line block ×12, first 2 shown]

/* or masks to check for exit */
s_mov_b64 s[58:59], 0x0                            // empty mask
s_or_b64 s[58:59], s[62:63], s[58:59]              // or to add threads
s_or_b64 s[58:59], s[64:65], s[58:59]              // or to add threads
	;; [unrolled: 1-line block ×12, first 2 shown]
s_or_saveexec_b64 s[60:61], s[58:59]               // apply combined mask
s_cbranch_execz label_0106                         // if exec is zero skip loop

/* atomic CAS loop */
label_0105:

/* apply updated masks and issue writes again */
s_mov_b64 exec, s[62:63]                           // must try again
v_mov_b32 v137, v136                               // dataV+1 = tmp (new original C)
v_pk_add_f16 v136, v137, v[vgprValuC+48]           // newC = rC + originalC
_buffer_atomic_cmpswap_b32 v[136:137], v134, s[sgprSrdD:sgprSrdD+3] 0 offen offset:0 glc   // attempt write
s_mov_b64 exec, s[64:65]                           // must try again
v_mov_b32 v139, v138                               // dataV+1 = tmp (new original C)
v_pk_add_f16 v138, v139, v[vgprValuC+49]           // newC = rC + originalC
_buffer_atomic_cmpswap_b32 v[138:139], v135, s[sgprSrdD:sgprSrdD+3] 0 offen offset:0 glc   // attempt write
s_mov_b64 exec, s[66:67]                           // must try again
v_mov_b32 v143, v142                               // dataV+1 = tmp (new original C)
v_pk_add_f16 v142, v143, v[vgprValuC+50]           // newC = rC + originalC
_buffer_atomic_cmpswap_b32 v[142:143], v140, s[sgprSrdD:sgprSrdD+3] 0 offen offset:0 glc   // attempt write
s_mov_b64 exec, s[68:69]                           // must try again
v_mov_b32 v145, v144                               // dataV+1 = tmp (new original C)
v_pk_add_f16 v144, v145, v[vgprValuC+51]           // newC = rC + originalC
_buffer_atomic_cmpswap_b32 v[144:145], v141, s[sgprSrdD:sgprSrdD+3] 0 offen offset:0 glc   // attempt write
s_mov_b64 exec, s[70:71]                           // must try again
v_mov_b32 v149, v148                               // dataV+1 = tmp (new original C)
v_pk_add_f16 v148, v149, v[vgprValuC+52]           // newC = rC + originalC
_buffer_atomic_cmpswap_b32 v[148:149], v146, s[sgprSrdD:sgprSrdD+3] 0 offen offset:0 glc   // attempt write
s_mov_b64 exec, s[72:73]                           // must try again
v_mov_b32 v151, v150                               // dataV+1 = tmp (new original C)
v_pk_add_f16 v150, v151, v[vgprValuC+53]           // newC = rC + originalC
_buffer_atomic_cmpswap_b32 v[150:151], v147, s[sgprSrdD:sgprSrdD+3] 0 offen offset:0 glc   // attempt write
s_mov_b64 exec, s[74:75]                           // must try again
v_mov_b32 v155, v154                               // dataV+1 = tmp (new original C)
v_pk_add_f16 v154, v155, v[vgprValuC+54]           // newC = rC + originalC
_buffer_atomic_cmpswap_b32 v[154:155], v152, s[sgprSrdD:sgprSrdD+3] 0 offen offset:0 glc   // attempt write
s_mov_b64 exec, s[76:77]                           // must try again
v_mov_b32 v157, v156                               // dataV+1 = tmp (new original C)
v_pk_add_f16 v156, v157, v[vgprValuC+55]           // newC = rC + originalC
_buffer_atomic_cmpswap_b32 v[156:157], v153, s[sgprSrdD:sgprSrdD+3] 0 offen offset:0 glc   // attempt write
s_mov_b64 exec, s[78:79]                           // must try again
v_mov_b32 v161, v160                               // dataV+1 = tmp (new original C)
v_pk_add_f16 v160, v161, v[vgprValuC+56]           // newC = rC + originalC
_buffer_atomic_cmpswap_b32 v[160:161], v158, s[sgprSrdD:sgprSrdD+3] 0 offen offset:0 glc   // attempt write
s_mov_b64 exec, s[80:81]                           // must try again
v_mov_b32 v163, v162                               // dataV+1 = tmp (new original C)
v_pk_add_f16 v162, v163, v[vgprValuC+57]           // newC = rC + originalC
_buffer_atomic_cmpswap_b32 v[162:163], v159, s[sgprSrdD:sgprSrdD+3] 0 offen offset:0 glc   // attempt write
s_mov_b64 exec, s[82:83]                           // must try again
v_mov_b32 v167, v166                               // dataV+1 = tmp (new original C)
v_pk_add_f16 v166, v167, v[vgprValuC+58]           // newC = rC + originalC
_buffer_atomic_cmpswap_b32 v[166:167], v164, s[sgprSrdD:sgprSrdD+3] 0 offen offset:0 glc   // attempt write
s_mov_b64 exec, s[84:85]                           // must try again
v_mov_b32 v169, v168                               // dataV+1 = tmp (new original C)
v_pk_add_f16 v168, v169, v[vgprValuC+59]           // newC = rC + originalC
_buffer_atomic_cmpswap_b32 v[168:169], v165, s[sgprSrdD:sgprSrdD+3] 0 offen offset:0 glc   // attempt write
s_waitcnt vmcnt(0)                                 // wait for atomic writes

/* apply masks and check for success */
s_mov_b64 exec, s[62:63]                           // must try again
v_cmp_ne_u32 s[58:59], v136, v137                  // c read during atomic != c read during prior load
s_and_b64 s[62:63], s[58:59], s[62:63]             // inBounds & must try again
s_mov_b64 exec, s[64:65]                           // must try again
v_cmp_ne_u32 s[58:59], v138, v139                  // c read during atomic != c read during prior load
s_and_b64 s[64:65], s[58:59], s[64:65]             // inBounds & must try again
	;; [unrolled: 3-line block ×12, first 2 shown]

/* or masks to check for exit */
s_mov_b64 s[58:59], 0x0                            // empty mask
s_or_b64 s[58:59], s[62:63], s[58:59]              // or to add threads
s_or_b64 s[58:59], s[64:65], s[58:59]              // or to add threads
	;; [unrolled: 1-line block ×12, first 2 shown]
s_or_saveexec_b64 s[60:61], s[58:59]               // apply combined mask
s_cbranch_execnz label_0105                        // try again if not complete
label_0106:
s_mov_b64 exec, -1                                 // full mask -> exec
/* optSingleColVgpr=0 optSharedColVgpr=0 optSGPRUsage=None optSrdIncForRow=0 */

/******************************************/
/* Global Write Alpha Edge Batch #5 (d1,d0,vc1,vc0) = */
/*    (1,2,3,0:vw2:vaw:2); (1,2,3,2:vw2:vaw:2); (1,3,3,0:vw2:vaw:2); (1,3,3,2:vw2:vaw:2); (2,0,0,0:vw2:vaw:2); (2,0,0,2:vw2:vaw:2); (2,1,0,0:vw2:vaw:2); (2,1,0,2:vw2:vaw:2); (2,2,0,0:vw2:vaw:2); (2,2,0,2:vw2:vaw:2); (2,3,0,0:vw2:vaw:2); (2,3,0,2:vw2:vaw:2) */
/******************************************/

/* calc coords, apply mask, and issue loads (if necessary) */
/* (d1,vc1,d0,vc0)=(1,3,2,0) */
s_mov_b32 s58, 128                                 // coordOffset0 d0=2 vc0=0
_v_add_co_u32 v132, vcc, v128, s58                 // coord0.2: coord0 += d0*sg0*VW + vc0
v_cmp_lt_u32 s[58:59], v132, s[sgprSizeI]          // coord0 < size0
v_cmp_lt_u32 s[62:63], v129, s[sgprSizeJ]          // coord1 < size1
s_and_b64 s[62:63], s[58:59], s[62:63]             // in0 && in1
_v_add_lshl_u32 v134, v131, v132, 0x1              // scaleToBpe: accumulate d0 lower and *= bpe into Cin addr
v_cndmask_b32 v134, -1, v134, s[62:63]             // LDD clip if OOB. offset
_buffer_load_b32 v137, v134, s[sgprSrdD:sgprSrdD+3], 0, offen offset:0 // load D (atomic) bpm=4 vaw=2
/* (d1,vc1,d0,vc0)=(1,3,2,2) */
s_mov_b32 s58, 130                                 // coordOffset0 d0=2 vc0=2
_v_add_co_u32 v132, vcc, v128, s58                 // coord0.2: coord0 += d0*sg0*VW + vc0
v_cmp_lt_u32 s[58:59], v132, s[sgprSizeI]          // coord0 < size0
v_cmp_lt_u32 s[64:65], v129, s[sgprSizeJ]          // coord1 < size1
s_and_b64 s[64:65], s[58:59], s[64:65]             // in0 && in1
_v_add_lshl_u32 v135, v131, v132, 0x1              // scaleToBpe: accumulate d0 lower and *= bpe into Cin addr
v_cndmask_b32 v135, -1, v135, s[64:65]             // LDD clip if OOB. offset
_buffer_load_b32 v139, v135, s[sgprSrdD:sgprSrdD+3], 0, offen offset:0 // load D (atomic) bpm=4 vaw=2
	;; [unrolled: 9-line block ×4, first 2 shown]
/* (d1,vc1,d0,vc0)=(2,0,0,0) */
_v_add_co_u32 v129, vcc, v129, 61                  // coord1.1: coord1Vgpr += d1*sg1*VW + vc1

/* Fix for UseInitialStridesCD, emitAddressSetupCode */
s_mul_i32 s58, s[sgprStrideC1J], 61                // scale stride
_v_add_u32 v130, v130, s58                         // ROWINC- Move cinRowPtr to next row
s_mul_i32 s58, s[sgprStrideD1J], 61                // scale stride
_v_add_u32 v131, v131, s58                         // Move coutRowPtr to next row
v_cmp_lt_u32 s[58:59], v128, s[sgprSizeI]          // coord0 < size0
v_cmp_lt_u32 s[70:71], v129, s[sgprSizeJ]          // coord1 < size1
s_and_b64 s[70:71], s[58:59], s[70:71]             // in0 && in1
_v_add_lshl_u32 v146, v131, v128, 0x1              // scaleToBpe: accumulate d0 lower and *= bpe into Cin addr
v_cndmask_b32 v146, -1, v146, s[70:71]             // LDD clip if OOB. offset
_buffer_load_b32 v149, v146, s[sgprSrdD:sgprSrdD+3], 0, offen offset:0 // load D (atomic) bpm=4 vaw=2
/* (d1,vc1,d0,vc0)=(2,0,0,2) */
_v_add_co_u32 v132, vcc, v128, 2                   // coord0.1: coord0 += d0*sg0*VW + vc0
v_cmp_lt_u32 s[58:59], v132, s[sgprSizeI]          // coord0 < size0
v_cmp_lt_u32 s[72:73], v129, s[sgprSizeJ]          // coord1 < size1
s_and_b64 s[72:73], s[58:59], s[72:73]             // in0 && in1
_v_add_lshl_u32 v147, v131, v132, 0x1              // scaleToBpe: accumulate d0 lower and *= bpe into Cin addr
v_cndmask_b32 v147, -1, v147, s[72:73]             // LDD clip if OOB. offset
_buffer_load_b32 v151, v147, s[sgprSrdD:sgprSrdD+3], 0, offen offset:0 // load D (atomic) bpm=4 vaw=2
/* (d1,vc1,d0,vc0)=(2,0,1,0) */
_v_add_co_u32 v132, vcc, v128, 64                  // coord0.1: coord0 += d0*sg0*VW + vc0
v_cmp_lt_u32 s[58:59], v132, s[sgprSizeI]          // coord0 < size0
v_cmp_lt_u32 s[74:75], v129, s[sgprSizeJ]          // coord1 < size1
s_and_b64 s[74:75], s[58:59], s[74:75]             // in0 && in1
_v_add_lshl_u32 v152, v131, v132, 0x1              // scaleToBpe: accumulate d0 lower and *= bpe into Cin addr
v_cndmask_b32 v152, -1, v152, s[74:75]             // LDD clip if OOB. offset
_buffer_load_b32 v155, v152, s[sgprSrdD:sgprSrdD+3], 0, offen offset:0 // load D (atomic) bpm=4 vaw=2
/* (d1,vc1,d0,vc0)=(2,0,1,2) */
s_mov_b32 s58, 66                                  // coordOffset0 d0=1 vc0=2
_v_add_co_u32 v132, vcc, v128, s58                 // coord0.2: coord0 += d0*sg0*VW + vc0
v_cmp_lt_u32 s[58:59], v132, s[sgprSizeI]          // coord0 < size0
v_cmp_lt_u32 s[76:77], v129, s[sgprSizeJ]          // coord1 < size1
s_and_b64 s[76:77], s[58:59], s[76:77]             // in0 && in1
_v_add_lshl_u32 v153, v131, v132, 0x1              // scaleToBpe: accumulate d0 lower and *= bpe into Cin addr
v_cndmask_b32 v153, -1, v153, s[76:77]             // LDD clip if OOB. offset
_buffer_load_b32 v157, v153, s[sgprSrdD:sgprSrdD+3], 0, offen offset:0 // load D (atomic) bpm=4 vaw=2
/* (d1,vc1,d0,vc0)=(2,0,2,0) */
s_mov_b32 s58, 128                                 // coordOffset0 d0=2 vc0=0
_v_add_co_u32 v132, vcc, v128, s58                 // coord0.2: coord0 += d0*sg0*VW + vc0
v_cmp_lt_u32 s[58:59], v132, s[sgprSizeI]          // coord0 < size0
v_cmp_lt_u32 s[78:79], v129, s[sgprSizeJ]          // coord1 < size1
s_and_b64 s[78:79], s[58:59], s[78:79]             // in0 && in1
_v_add_lshl_u32 v158, v131, v132, 0x1              // scaleToBpe: accumulate d0 lower and *= bpe into Cin addr
v_cndmask_b32 v158, -1, v158, s[78:79]             // LDD clip if OOB. offset
_buffer_load_b32 v161, v158, s[sgprSrdD:sgprSrdD+3], 0, offen offset:0 // load D (atomic) bpm=4 vaw=2
/* (d1,vc1,d0,vc0)=(2,0,2,2) */
s_mov_b32 s58, 130                                 // coordOffset0 d0=2 vc0=2
_v_add_co_u32 v132, vcc, v128, s58                 // coord0.2: coord0 += d0*sg0*VW + vc0
v_cmp_lt_u32 s[58:59], v132, s[sgprSizeI]          // coord0 < size0
v_cmp_lt_u32 s[80:81], v129, s[sgprSizeJ]          // coord1 < size1
s_and_b64 s[80:81], s[58:59], s[80:81]             // in0 && in1
_v_add_lshl_u32 v159, v131, v132, 0x1              // scaleToBpe: accumulate d0 lower and *= bpe into Cin addr
v_cndmask_b32 v159, -1, v159, s[80:81]             // LDD clip if OOB. offset
_buffer_load_b32 v163, v159, s[sgprSrdD:sgprSrdD+3], 0, offen offset:0 // load D (atomic) bpm=4 vaw=2
/* (d1,vc1,d0,vc0)=(2,0,3,0) */
s_mov_b32 s58, 192                                 // coordOffset0 d0=3 vc0=0
_v_add_co_u32 v132, vcc, v128, s58                 // coord0.2: coord0 += d0*sg0*VW + vc0
v_cmp_lt_u32 s[58:59], v132, s[sgprSizeI]          // coord0 < size0
v_cmp_lt_u32 s[82:83], v129, s[sgprSizeJ]          // coord1 < size1
s_and_b64 s[82:83], s[58:59], s[82:83]             // in0 && in1
_v_add_lshl_u32 v164, v131, v132, 0x1              // scaleToBpe: accumulate d0 lower and *= bpe into Cin addr
v_cndmask_b32 v164, -1, v164, s[82:83]             // LDD clip if OOB. offset
_buffer_load_b32 v167, v164, s[sgprSrdD:sgprSrdD+3], 0, offen offset:0 // load D (atomic) bpm=4 vaw=2
/* (d1,vc1,d0,vc0)=(2,0,3,2) */
s_mov_b32 s58, 194                                 // coordOffset0 d0=3 vc0=2
_v_add_co_u32 v132, vcc, v128, s58                 // coord0.2: coord0 += d0*sg0*VW + vc0
v_cmp_lt_u32 s[58:59], v132, s[sgprSizeI]          // coord0 < size0
v_cmp_lt_u32 s[84:85], v129, s[sgprSizeJ]          // coord1 < size1
s_and_b64 s[84:85], s[58:59], s[84:85]             // in0 && in1
_v_add_lshl_u32 v165, v131, v132, 0x1              // scaleToBpe: accumulate d0 lower and *= bpe into Cin addr
v_cndmask_b32 v165, -1, v165, s[84:85]             // LDD clip if OOB. offset
_buffer_load_b32 v169, v165, s[sgprSrdD:sgprSrdD+3], 0, offen offset:0 // load D (atomic) bpm=4 vaw=2

/* rC *= alpha batchElements=[(1, 2, 3, 0), (1, 2, 3, 2), (1, 3, 3, 0), (1, 3, 3, 2), (2, 0, 0, 0), (2, 0, 0, 2), (2, 1, 0, 0), (2, 1, 0, 2), (2, 2, 0, 0), (2, 2, 0, 2), (2, 3, 0, 0), (2, 3, 0, 2)] */
v_pk_mul_f16 v[vgprValuC+60], s[sgprAlpha], v[vgprValuC+60] // *= alpha sumIdx=120 vi=1
v_pk_mul_f16 v[vgprValuC+61], s[sgprAlpha], v[vgprValuC+61] // *= alpha sumIdx=122 vi=1
	;; [unrolled: 1-line block ×12, first 2 shown]
s_waitcnt vmcnt(0)                                 // wait C (atomic)

/* issue first atomic writes */
s_mov_b64 exec, s[62:63]                           // sgprs -> exec (before atomic)
v_pk_add_f16 v136, v137, v[vgprValuC+60]           // desired value
_buffer_atomic_cmpswap_b32 v[136:137], v134, s[sgprSrdD:sgprSrdD+3] 0 offen offset:0 glc   // attempt write
s_mov_b64 exec, s[64:65]                           // sgprs -> exec (before atomic)
v_pk_add_f16 v138, v139, v[vgprValuC+61]           // desired value
_buffer_atomic_cmpswap_b32 v[138:139], v135, s[sgprSrdD:sgprSrdD+3] 0 offen offset:0 glc   // attempt write
	;; [unrolled: 3-line block ×12, first 2 shown]
s_waitcnt vmcnt(0)                                 // wait for atomic writes

/* check success of writes, update masks */
s_mov_b64 exec, s[62:63]                           // sgprs -> exec
v_cmp_ne_u32 s[58:59], v136, v137                  // c read during atomic != c read during prior load
s_and_b64 s[62:63], s[58:59], s[62:63]             // inBounds & must try again
s_mov_b64 exec, s[64:65]                           // sgprs -> exec
v_cmp_ne_u32 s[58:59], v138, v139                  // c read during atomic != c read during prior load
s_and_b64 s[64:65], s[58:59], s[64:65]             // inBounds & must try again
	;; [unrolled: 3-line block ×12, first 2 shown]

/* or masks to check for exit */
s_mov_b64 s[58:59], 0x0                            // empty mask
s_or_b64 s[58:59], s[62:63], s[58:59]              // or to add threads
s_or_b64 s[58:59], s[64:65], s[58:59]              // or to add threads
s_or_b64 s[58:59], s[66:67], s[58:59]              // or to add threads
s_or_b64 s[58:59], s[68:69], s[58:59]              // or to add threads
s_or_b64 s[58:59], s[70:71], s[58:59]              // or to add threads
s_or_b64 s[58:59], s[72:73], s[58:59]              // or to add threads
s_or_b64 s[58:59], s[74:75], s[58:59]              // or to add threads
s_or_b64 s[58:59], s[76:77], s[58:59]              // or to add threads
s_or_b64 s[58:59], s[78:79], s[58:59]              // or to add threads
s_or_b64 s[58:59], s[80:81], s[58:59]              // or to add threads
s_or_b64 s[58:59], s[82:83], s[58:59]              // or to add threads
s_or_b64 s[58:59], s[84:85], s[58:59]              // or to add threads
s_or_saveexec_b64 s[60:61], s[58:59]               // apply combined mask
s_cbranch_execz label_0108                         // if exec is zero skip loop

/* atomic CAS loop */
label_0107:

/* apply updated masks and issue writes again */
s_mov_b64 exec, s[62:63]                           // must try again
v_mov_b32 v137, v136                               // dataV+1 = tmp (new original C)
v_pk_add_f16 v136, v137, v[vgprValuC+60]           // newC = rC + originalC
_buffer_atomic_cmpswap_b32 v[136:137], v134, s[sgprSrdD:sgprSrdD+3] 0 offen offset:0 glc   // attempt write
s_mov_b64 exec, s[64:65]                           // must try again
v_mov_b32 v139, v138                               // dataV+1 = tmp (new original C)
v_pk_add_f16 v138, v139, v[vgprValuC+61]           // newC = rC + originalC
_buffer_atomic_cmpswap_b32 v[138:139], v135, s[sgprSrdD:sgprSrdD+3] 0 offen offset:0 glc   // attempt write
	;; [unrolled: 4-line block ×12, first 2 shown]
s_waitcnt vmcnt(0)                                 // wait for atomic writes

/* apply masks and check for success */
s_mov_b64 exec, s[62:63]                           // must try again
v_cmp_ne_u32 s[58:59], v136, v137                  // c read during atomic != c read during prior load
s_and_b64 s[62:63], s[58:59], s[62:63]             // inBounds & must try again
s_mov_b64 exec, s[64:65]                           // must try again
v_cmp_ne_u32 s[58:59], v138, v139                  // c read during atomic != c read during prior load
s_and_b64 s[64:65], s[58:59], s[64:65]             // inBounds & must try again
	;; [unrolled: 3-line block ×12, first 2 shown]

/* or masks to check for exit */
s_mov_b64 s[58:59], 0x0                            // empty mask
s_or_b64 s[58:59], s[62:63], s[58:59]              // or to add threads
s_or_b64 s[58:59], s[64:65], s[58:59]              // or to add threads
	;; [unrolled: 1-line block ×12, first 2 shown]
s_or_saveexec_b64 s[60:61], s[58:59]               // apply combined mask
s_cbranch_execnz label_0107                        // try again if not complete
label_0108:
s_mov_b64 exec, -1                                 // full mask -> exec
/* optSingleColVgpr=0 optSharedColVgpr=0 optSGPRUsage=None optSrdIncForRow=0 */

/******************************************/
/* Global Write Alpha Edge Batch #6 (d1,d0,vc1,vc0) = */
/*    (2,0,1,0:vw2:vaw:2); (2,0,1,2:vw2:vaw:2); (2,1,1,0:vw2:vaw:2); (2,1,1,2:vw2:vaw:2); (2,2,1,0:vw2:vaw:2); (2,2,1,2:vw2:vaw:2); (2,3,1,0:vw2:vaw:2); (2,3,1,2:vw2:vaw:2); (2,0,2,0:vw2:vaw:2); (2,0,2,2:vw2:vaw:2); (2,1,2,0:vw2:vaw:2); (2,1,2,2:vw2:vaw:2) */
/******************************************/

/* calc coords, apply mask, and issue loads (if necessary) */
/* (d1,vc1,d0,vc0)=(2,1,0,0) */
_v_add_co_u32 v129, vcc, v129, 1                   // coord1.1: coord1Vgpr += d1*sg1*VW + vc1

/* Fix for UseInitialStridesCD, emitAddressSetupCode */
_v_add_u32 v130, v130, s[sgprStrideC1J]            // ROWINC- Move cinRowPtr to next row
_v_add_u32 v131, v131, s[sgprStrideD1J]            // Move coutRowPtr to next row
v_cmp_lt_u32 s[58:59], v128, s[sgprSizeI]          // coord0 < size0
v_cmp_lt_u32 s[62:63], v129, s[sgprSizeJ]          // coord1 < size1
s_and_b64 s[62:63], s[58:59], s[62:63]             // in0 && in1
_v_add_lshl_u32 v134, v131, v128, 0x1              // scaleToBpe: accumulate d0 lower and *= bpe into Cin addr
v_cndmask_b32 v134, -1, v134, s[62:63]             // LDD clip if OOB. offset
_buffer_load_b32 v137, v134, s[sgprSrdD:sgprSrdD+3], 0, offen offset:0 // load D (atomic) bpm=4 vaw=2
/* (d1,vc1,d0,vc0)=(2,1,0,2) */
_v_add_co_u32 v132, vcc, v128, 2                   // coord0.1: coord0 += d0*sg0*VW + vc0
v_cmp_lt_u32 s[58:59], v132, s[sgprSizeI]          // coord0 < size0
v_cmp_lt_u32 s[64:65], v129, s[sgprSizeJ]          // coord1 < size1
s_and_b64 s[64:65], s[58:59], s[64:65]             // in0 && in1
_v_add_lshl_u32 v135, v131, v132, 0x1              // scaleToBpe: accumulate d0 lower and *= bpe into Cin addr
v_cndmask_b32 v135, -1, v135, s[64:65]             // LDD clip if OOB. offset
_buffer_load_b32 v139, v135, s[sgprSrdD:sgprSrdD+3], 0, offen offset:0 // load D (atomic) bpm=4 vaw=2
/* (d1,vc1,d0,vc0)=(2,1,1,0) */
_v_add_co_u32 v132, vcc, v128, 64                  // coord0.1: coord0 += d0*sg0*VW + vc0
v_cmp_lt_u32 s[58:59], v132, s[sgprSizeI]          // coord0 < size0
v_cmp_lt_u32 s[66:67], v129, s[sgprSizeJ]          // coord1 < size1
s_and_b64 s[66:67], s[58:59], s[66:67]             // in0 && in1
_v_add_lshl_u32 v140, v131, v132, 0x1              // scaleToBpe: accumulate d0 lower and *= bpe into Cin addr
v_cndmask_b32 v140, -1, v140, s[66:67]             // LDD clip if OOB. offset
_buffer_load_b32 v143, v140, s[sgprSrdD:sgprSrdD+3], 0, offen offset:0 // load D (atomic) bpm=4 vaw=2
/* (d1,vc1,d0,vc0)=(2,1,1,2) */
s_mov_b32 s58, 66                                  // coordOffset0 d0=1 vc0=2
_v_add_co_u32 v132, vcc, v128, s58                 // coord0.2: coord0 += d0*sg0*VW + vc0
v_cmp_lt_u32 s[58:59], v132, s[sgprSizeI]          // coord0 < size0
v_cmp_lt_u32 s[68:69], v129, s[sgprSizeJ]          // coord1 < size1
s_and_b64 s[68:69], s[58:59], s[68:69]             // in0 && in1
_v_add_lshl_u32 v141, v131, v132, 0x1              // scaleToBpe: accumulate d0 lower and *= bpe into Cin addr
v_cndmask_b32 v141, -1, v141, s[68:69]             // LDD clip if OOB. offset
_buffer_load_b32 v145, v141, s[sgprSrdD:sgprSrdD+3], 0, offen offset:0 // load D (atomic) bpm=4 vaw=2
/* (d1,vc1,d0,vc0)=(2,1,2,0) */
s_mov_b32 s58, 128                                 // coordOffset0 d0=2 vc0=0
_v_add_co_u32 v132, vcc, v128, s58                 // coord0.2: coord0 += d0*sg0*VW + vc0
v_cmp_lt_u32 s[58:59], v132, s[sgprSizeI]          // coord0 < size0
v_cmp_lt_u32 s[70:71], v129, s[sgprSizeJ]          // coord1 < size1
s_and_b64 s[70:71], s[58:59], s[70:71]             // in0 && in1
_v_add_lshl_u32 v146, v131, v132, 0x1              // scaleToBpe: accumulate d0 lower and *= bpe into Cin addr
v_cndmask_b32 v146, -1, v146, s[70:71]             // LDD clip if OOB. offset
_buffer_load_b32 v149, v146, s[sgprSrdD:sgprSrdD+3], 0, offen offset:0 // load D (atomic) bpm=4 vaw=2
/* (d1,vc1,d0,vc0)=(2,1,2,2) */
s_mov_b32 s58, 130                                 // coordOffset0 d0=2 vc0=2
	;; [unrolled: 9-line block ×4, first 2 shown]
_v_add_co_u32 v132, vcc, v128, s58                 // coord0.2: coord0 += d0*sg0*VW + vc0
v_cmp_lt_u32 s[58:59], v132, s[sgprSizeI]          // coord0 < size0
v_cmp_lt_u32 s[76:77], v129, s[sgprSizeJ]          // coord1 < size1
s_and_b64 s[76:77], s[58:59], s[76:77]             // in0 && in1
_v_add_lshl_u32 v153, v131, v132, 0x1              // scaleToBpe: accumulate d0 lower and *= bpe into Cin addr
v_cndmask_b32 v153, -1, v153, s[76:77]             // LDD clip if OOB. offset
_buffer_load_b32 v157, v153, s[sgprSrdD:sgprSrdD+3], 0, offen offset:0 // load D (atomic) bpm=4 vaw=2
/* (d1,vc1,d0,vc0)=(2,2,0,0) */
_v_add_co_u32 v129, vcc, v129, 1                   // coord1.1: coord1Vgpr += d1*sg1*VW + vc1

/* Fix for UseInitialStridesCD, emitAddressSetupCode */
_v_add_u32 v130, v130, s[sgprStrideC1J]            // ROWINC- Move cinRowPtr to next row
_v_add_u32 v131, v131, s[sgprStrideD1J]            // Move coutRowPtr to next row
v_cmp_lt_u32 s[58:59], v128, s[sgprSizeI]          // coord0 < size0
v_cmp_lt_u32 s[78:79], v129, s[sgprSizeJ]          // coord1 < size1
s_and_b64 s[78:79], s[58:59], s[78:79]             // in0 && in1
_v_add_lshl_u32 v158, v131, v128, 0x1              // scaleToBpe: accumulate d0 lower and *= bpe into Cin addr
v_cndmask_b32 v158, -1, v158, s[78:79]             // LDD clip if OOB. offset
_buffer_load_b32 v161, v158, s[sgprSrdD:sgprSrdD+3], 0, offen offset:0 // load D (atomic) bpm=4 vaw=2
/* (d1,vc1,d0,vc0)=(2,2,0,2) */
_v_add_co_u32 v132, vcc, v128, 2                   // coord0.1: coord0 += d0*sg0*VW + vc0
v_cmp_lt_u32 s[58:59], v132, s[sgprSizeI]          // coord0 < size0
v_cmp_lt_u32 s[80:81], v129, s[sgprSizeJ]          // coord1 < size1
s_and_b64 s[80:81], s[58:59], s[80:81]             // in0 && in1
_v_add_lshl_u32 v159, v131, v132, 0x1              // scaleToBpe: accumulate d0 lower and *= bpe into Cin addr
v_cndmask_b32 v159, -1, v159, s[80:81]             // LDD clip if OOB. offset
_buffer_load_b32 v163, v159, s[sgprSrdD:sgprSrdD+3], 0, offen offset:0 // load D (atomic) bpm=4 vaw=2
/* (d1,vc1,d0,vc0)=(2,2,1,0) */
_v_add_co_u32 v132, vcc, v128, 64                  // coord0.1: coord0 += d0*sg0*VW + vc0
v_cmp_lt_u32 s[58:59], v132, s[sgprSizeI]          // coord0 < size0
v_cmp_lt_u32 s[82:83], v129, s[sgprSizeJ]          // coord1 < size1
s_and_b64 s[82:83], s[58:59], s[82:83]             // in0 && in1
_v_add_lshl_u32 v164, v131, v132, 0x1              // scaleToBpe: accumulate d0 lower and *= bpe into Cin addr
v_cndmask_b32 v164, -1, v164, s[82:83]             // LDD clip if OOB. offset
_buffer_load_b32 v167, v164, s[sgprSrdD:sgprSrdD+3], 0, offen offset:0 // load D (atomic) bpm=4 vaw=2
/* (d1,vc1,d0,vc0)=(2,2,1,2) */
s_mov_b32 s58, 66                                  // coordOffset0 d0=1 vc0=2
_v_add_co_u32 v132, vcc, v128, s58                 // coord0.2: coord0 += d0*sg0*VW + vc0
v_cmp_lt_u32 s[58:59], v132, s[sgprSizeI]          // coord0 < size0
v_cmp_lt_u32 s[84:85], v129, s[sgprSizeJ]          // coord1 < size1
s_and_b64 s[84:85], s[58:59], s[84:85]             // in0 && in1
_v_add_lshl_u32 v165, v131, v132, 0x1              // scaleToBpe: accumulate d0 lower and *= bpe into Cin addr
v_cndmask_b32 v165, -1, v165, s[84:85]             // LDD clip if OOB. offset
_buffer_load_b32 v169, v165, s[sgprSrdD:sgprSrdD+3], 0, offen offset:0 // load D (atomic) bpm=4 vaw=2

/* rC *= alpha batchElements=[(2, 0, 1, 0), (2, 0, 1, 2), (2, 1, 1, 0), (2, 1, 1, 2), (2, 2, 1, 0), (2, 2, 1, 2), (2, 3, 1, 0), (2, 3, 1, 2), (2, 0, 2, 0), (2, 0, 2, 2), (2, 1, 2, 0), (2, 1, 2, 2)] */
v_pk_mul_f16 v[vgprValuC+72], s[sgprAlpha], v[vgprValuC+72] // *= alpha sumIdx=144 vi=1
v_pk_mul_f16 v[vgprValuC+73], s[sgprAlpha], v[vgprValuC+73] // *= alpha sumIdx=146 vi=1
	;; [unrolled: 1-line block ×12, first 2 shown]
s_waitcnt vmcnt(0)                                 // wait C (atomic)

/* issue first atomic writes */
s_mov_b64 exec, s[62:63]                           // sgprs -> exec (before atomic)
v_pk_add_f16 v136, v137, v[vgprValuC+72]           // desired value
_buffer_atomic_cmpswap_b32 v[136:137], v134, s[sgprSrdD:sgprSrdD+3] 0 offen offset:0 glc   // attempt write
s_mov_b64 exec, s[64:65]                           // sgprs -> exec (before atomic)
v_pk_add_f16 v138, v139, v[vgprValuC+73]           // desired value
_buffer_atomic_cmpswap_b32 v[138:139], v135, s[sgprSrdD:sgprSrdD+3] 0 offen offset:0 glc   // attempt write
	;; [unrolled: 3-line block ×12, first 2 shown]
s_waitcnt vmcnt(0)                                 // wait for atomic writes

/* check success of writes, update masks */
s_mov_b64 exec, s[62:63]                           // sgprs -> exec
v_cmp_ne_u32 s[58:59], v136, v137                  // c read during atomic != c read during prior load
s_and_b64 s[62:63], s[58:59], s[62:63]             // inBounds & must try again
s_mov_b64 exec, s[64:65]                           // sgprs -> exec
v_cmp_ne_u32 s[58:59], v138, v139                  // c read during atomic != c read during prior load
s_and_b64 s[64:65], s[58:59], s[64:65]             // inBounds & must try again
	;; [unrolled: 3-line block ×12, first 2 shown]

/* or masks to check for exit */
s_mov_b64 s[58:59], 0x0                            // empty mask
s_or_b64 s[58:59], s[62:63], s[58:59]              // or to add threads
s_or_b64 s[58:59], s[64:65], s[58:59]              // or to add threads
	;; [unrolled: 1-line block ×12, first 2 shown]
s_or_saveexec_b64 s[60:61], s[58:59]               // apply combined mask
s_cbranch_execz label_0110                         // if exec is zero skip loop

/* atomic CAS loop */
label_0109:

/* apply updated masks and issue writes again */
s_mov_b64 exec, s[62:63]                           // must try again
v_mov_b32 v137, v136                               // dataV+1 = tmp (new original C)
v_pk_add_f16 v136, v137, v[vgprValuC+72]           // newC = rC + originalC
_buffer_atomic_cmpswap_b32 v[136:137], v134, s[sgprSrdD:sgprSrdD+3] 0 offen offset:0 glc   // attempt write
s_mov_b64 exec, s[64:65]                           // must try again
v_mov_b32 v139, v138                               // dataV+1 = tmp (new original C)
v_pk_add_f16 v138, v139, v[vgprValuC+73]           // newC = rC + originalC
_buffer_atomic_cmpswap_b32 v[138:139], v135, s[sgprSrdD:sgprSrdD+3] 0 offen offset:0 glc   // attempt write
	;; [unrolled: 4-line block ×12, first 2 shown]
s_waitcnt vmcnt(0)                                 // wait for atomic writes

/* apply masks and check for success */
s_mov_b64 exec, s[62:63]                           // must try again
v_cmp_ne_u32 s[58:59], v136, v137                  // c read during atomic != c read during prior load
s_and_b64 s[62:63], s[58:59], s[62:63]             // inBounds & must try again
s_mov_b64 exec, s[64:65]                           // must try again
v_cmp_ne_u32 s[58:59], v138, v139                  // c read during atomic != c read during prior load
s_and_b64 s[64:65], s[58:59], s[64:65]             // inBounds & must try again
	;; [unrolled: 3-line block ×12, first 2 shown]

/* or masks to check for exit */
s_mov_b64 s[58:59], 0x0                            // empty mask
s_or_b64 s[58:59], s[62:63], s[58:59]              // or to add threads
s_or_b64 s[58:59], s[64:65], s[58:59]              // or to add threads
	;; [unrolled: 1-line block ×12, first 2 shown]
s_or_saveexec_b64 s[60:61], s[58:59]               // apply combined mask
s_cbranch_execnz label_0109                        // try again if not complete
label_0110:
s_mov_b64 exec, -1                                 // full mask -> exec
/* optSingleColVgpr=0 optSharedColVgpr=0 optSGPRUsage=None optSrdIncForRow=0 */

/******************************************/
/* Global Write Alpha Edge Batch #7 (d1,d0,vc1,vc0) = */
/*    (2,2,2,0:vw2:vaw:2); (2,2,2,2:vw2:vaw:2); (2,3,2,0:vw2:vaw:2); (2,3,2,2:vw2:vaw:2); (2,0,3,0:vw2:vaw:2); (2,0,3,2:vw2:vaw:2); (2,1,3,0:vw2:vaw:2); (2,1,3,2:vw2:vaw:2); (2,2,3,0:vw2:vaw:2); (2,2,3,2:vw2:vaw:2); (2,3,3,0:vw2:vaw:2); (2,3,3,2:vw2:vaw:2) */
/******************************************/

/* calc coords, apply mask, and issue loads (if necessary) */
/* (d1,vc1,d0,vc0)=(2,2,2,0) */
s_mov_b32 s58, 128                                 // coordOffset0 d0=2 vc0=0
_v_add_co_u32 v132, vcc, v128, s58                 // coord0.2: coord0 += d0*sg0*VW + vc0
v_cmp_lt_u32 s[58:59], v132, s[sgprSizeI]          // coord0 < size0
v_cmp_lt_u32 s[62:63], v129, s[sgprSizeJ]          // coord1 < size1
s_and_b64 s[62:63], s[58:59], s[62:63]             // in0 && in1
_v_add_lshl_u32 v134, v131, v132, 0x1              // scaleToBpe: accumulate d0 lower and *= bpe into Cin addr
v_cndmask_b32 v134, -1, v134, s[62:63]             // LDD clip if OOB. offset
_buffer_load_b32 v137, v134, s[sgprSrdD:sgprSrdD+3], 0, offen offset:0 // load D (atomic) bpm=4 vaw=2
/* (d1,vc1,d0,vc0)=(2,2,2,2) */
s_mov_b32 s58, 130                                 // coordOffset0 d0=2 vc0=2
_v_add_co_u32 v132, vcc, v128, s58                 // coord0.2: coord0 += d0*sg0*VW + vc0
v_cmp_lt_u32 s[58:59], v132, s[sgprSizeI]          // coord0 < size0
v_cmp_lt_u32 s[64:65], v129, s[sgprSizeJ]          // coord1 < size1
s_and_b64 s[64:65], s[58:59], s[64:65]             // in0 && in1
_v_add_lshl_u32 v135, v131, v132, 0x1              // scaleToBpe: accumulate d0 lower and *= bpe into Cin addr
v_cndmask_b32 v135, -1, v135, s[64:65]             // LDD clip if OOB. offset
_buffer_load_b32 v139, v135, s[sgprSrdD:sgprSrdD+3], 0, offen offset:0 // load D (atomic) bpm=4 vaw=2
/* (d1,vc1,d0,vc0)=(2,2,3,0) */
s_mov_b32 s58, 192                                 // coordOffset0 d0=3 vc0=0
_v_add_co_u32 v132, vcc, v128, s58                 // coord0.2: coord0 += d0*sg0*VW + vc0
v_cmp_lt_u32 s[58:59], v132, s[sgprSizeI]          // coord0 < size0
v_cmp_lt_u32 s[66:67], v129, s[sgprSizeJ]          // coord1 < size1
s_and_b64 s[66:67], s[58:59], s[66:67]             // in0 && in1
_v_add_lshl_u32 v140, v131, v132, 0x1              // scaleToBpe: accumulate d0 lower and *= bpe into Cin addr
v_cndmask_b32 v140, -1, v140, s[66:67]             // LDD clip if OOB. offset
_buffer_load_b32 v143, v140, s[sgprSrdD:sgprSrdD+3], 0, offen offset:0 // load D (atomic) bpm=4 vaw=2
/* (d1,vc1,d0,vc0)=(2,2,3,2) */
s_mov_b32 s58, 194                                 // coordOffset0 d0=3 vc0=2
_v_add_co_u32 v132, vcc, v128, s58                 // coord0.2: coord0 += d0*sg0*VW + vc0
v_cmp_lt_u32 s[58:59], v132, s[sgprSizeI]          // coord0 < size0
v_cmp_lt_u32 s[68:69], v129, s[sgprSizeJ]          // coord1 < size1
s_and_b64 s[68:69], s[58:59], s[68:69]             // in0 && in1
_v_add_lshl_u32 v141, v131, v132, 0x1              // scaleToBpe: accumulate d0 lower and *= bpe into Cin addr
v_cndmask_b32 v141, -1, v141, s[68:69]             // LDD clip if OOB. offset
_buffer_load_b32 v145, v141, s[sgprSrdD:sgprSrdD+3], 0, offen offset:0 // load D (atomic) bpm=4 vaw=2
/* (d1,vc1,d0,vc0)=(2,3,0,0) */
_v_add_co_u32 v129, vcc, v129, 1                   // coord1.1: coord1Vgpr += d1*sg1*VW + vc1

/* Fix for UseInitialStridesCD, emitAddressSetupCode */
_v_add_u32 v130, v130, s[sgprStrideC1J]            // ROWINC- Move cinRowPtr to next row
_v_add_u32 v131, v131, s[sgprStrideD1J]            // Move coutRowPtr to next row
v_cmp_lt_u32 s[58:59], v128, s[sgprSizeI]          // coord0 < size0
v_cmp_lt_u32 s[70:71], v129, s[sgprSizeJ]          // coord1 < size1
s_and_b64 s[70:71], s[58:59], s[70:71]             // in0 && in1
_v_add_lshl_u32 v146, v131, v128, 0x1              // scaleToBpe: accumulate d0 lower and *= bpe into Cin addr
v_cndmask_b32 v146, -1, v146, s[70:71]             // LDD clip if OOB. offset
_buffer_load_b32 v149, v146, s[sgprSrdD:sgprSrdD+3], 0, offen offset:0 // load D (atomic) bpm=4 vaw=2
/* (d1,vc1,d0,vc0)=(2,3,0,2) */
_v_add_co_u32 v132, vcc, v128, 2                   // coord0.1: coord0 += d0*sg0*VW + vc0
v_cmp_lt_u32 s[58:59], v132, s[sgprSizeI]          // coord0 < size0
v_cmp_lt_u32 s[72:73], v129, s[sgprSizeJ]          // coord1 < size1
s_and_b64 s[72:73], s[58:59], s[72:73]             // in0 && in1
_v_add_lshl_u32 v147, v131, v132, 0x1              // scaleToBpe: accumulate d0 lower and *= bpe into Cin addr
v_cndmask_b32 v147, -1, v147, s[72:73]             // LDD clip if OOB. offset
_buffer_load_b32 v151, v147, s[sgprSrdD:sgprSrdD+3], 0, offen offset:0 // load D (atomic) bpm=4 vaw=2
/* (d1,vc1,d0,vc0)=(2,3,1,0) */
_v_add_co_u32 v132, vcc, v128, 64                  // coord0.1: coord0 += d0*sg0*VW + vc0
v_cmp_lt_u32 s[58:59], v132, s[sgprSizeI]          // coord0 < size0
v_cmp_lt_u32 s[74:75], v129, s[sgprSizeJ]          // coord1 < size1
s_and_b64 s[74:75], s[58:59], s[74:75]             // in0 && in1
_v_add_lshl_u32 v152, v131, v132, 0x1              // scaleToBpe: accumulate d0 lower and *= bpe into Cin addr
v_cndmask_b32 v152, -1, v152, s[74:75]             // LDD clip if OOB. offset
_buffer_load_b32 v155, v152, s[sgprSrdD:sgprSrdD+3], 0, offen offset:0 // load D (atomic) bpm=4 vaw=2
/* (d1,vc1,d0,vc0)=(2,3,1,2) */
s_mov_b32 s58, 66                                  // coordOffset0 d0=1 vc0=2
_v_add_co_u32 v132, vcc, v128, s58                 // coord0.2: coord0 += d0*sg0*VW + vc0
v_cmp_lt_u32 s[58:59], v132, s[sgprSizeI]          // coord0 < size0
v_cmp_lt_u32 s[76:77], v129, s[sgprSizeJ]          // coord1 < size1
s_and_b64 s[76:77], s[58:59], s[76:77]             // in0 && in1
_v_add_lshl_u32 v153, v131, v132, 0x1              // scaleToBpe: accumulate d0 lower and *= bpe into Cin addr
v_cndmask_b32 v153, -1, v153, s[76:77]             // LDD clip if OOB. offset
_buffer_load_b32 v157, v153, s[sgprSrdD:sgprSrdD+3], 0, offen offset:0 // load D (atomic) bpm=4 vaw=2
/* (d1,vc1,d0,vc0)=(2,3,2,0) */
s_mov_b32 s58, 128                                 // coordOffset0 d0=2 vc0=0
_v_add_co_u32 v132, vcc, v128, s58                 // coord0.2: coord0 += d0*sg0*VW + vc0
v_cmp_lt_u32 s[58:59], v132, s[sgprSizeI]          // coord0 < size0
v_cmp_lt_u32 s[78:79], v129, s[sgprSizeJ]          // coord1 < size1
s_and_b64 s[78:79], s[58:59], s[78:79]             // in0 && in1
_v_add_lshl_u32 v158, v131, v132, 0x1              // scaleToBpe: accumulate d0 lower and *= bpe into Cin addr
v_cndmask_b32 v158, -1, v158, s[78:79]             // LDD clip if OOB. offset
_buffer_load_b32 v161, v158, s[sgprSrdD:sgprSrdD+3], 0, offen offset:0 // load D (atomic) bpm=4 vaw=2
/* (d1,vc1,d0,vc0)=(2,3,2,2) */
s_mov_b32 s58, 130                                 // coordOffset0 d0=2 vc0=2
	;; [unrolled: 9-line block ×4, first 2 shown]
_v_add_co_u32 v132, vcc, v128, s58                 // coord0.2: coord0 += d0*sg0*VW + vc0
v_cmp_lt_u32 s[58:59], v132, s[sgprSizeI]          // coord0 < size0
v_cmp_lt_u32 s[84:85], v129, s[sgprSizeJ]          // coord1 < size1
s_and_b64 s[84:85], s[58:59], s[84:85]             // in0 && in1
_v_add_lshl_u32 v165, v131, v132, 0x1              // scaleToBpe: accumulate d0 lower and *= bpe into Cin addr
v_cndmask_b32 v165, -1, v165, s[84:85]             // LDD clip if OOB. offset
_buffer_load_b32 v169, v165, s[sgprSrdD:sgprSrdD+3], 0, offen offset:0 // load D (atomic) bpm=4 vaw=2

/* rC *= alpha batchElements=[(2, 2, 2, 0), (2, 2, 2, 2), (2, 3, 2, 0), (2, 3, 2, 2), (2, 0, 3, 0), (2, 0, 3, 2), (2, 1, 3, 0), (2, 1, 3, 2), (2, 2, 3, 0), (2, 2, 3, 2), (2, 3, 3, 0), (2, 3, 3, 2)] */
v_pk_mul_f16 v[vgprValuC+84], s[sgprAlpha], v[vgprValuC+84] // *= alpha sumIdx=168 vi=1
v_pk_mul_f16 v[vgprValuC+85], s[sgprAlpha], v[vgprValuC+85] // *= alpha sumIdx=170 vi=1
	;; [unrolled: 1-line block ×12, first 2 shown]
s_waitcnt vmcnt(0)                                 // wait C (atomic)

/* issue first atomic writes */
s_mov_b64 exec, s[62:63]                           // sgprs -> exec (before atomic)
v_pk_add_f16 v136, v137, v[vgprValuC+84]           // desired value
_buffer_atomic_cmpswap_b32 v[136:137], v134, s[sgprSrdD:sgprSrdD+3] 0 offen offset:0 glc   // attempt write
s_mov_b64 exec, s[64:65]                           // sgprs -> exec (before atomic)
v_pk_add_f16 v138, v139, v[vgprValuC+85]           // desired value
_buffer_atomic_cmpswap_b32 v[138:139], v135, s[sgprSrdD:sgprSrdD+3] 0 offen offset:0 glc   // attempt write
	;; [unrolled: 3-line block ×12, first 2 shown]
s_waitcnt vmcnt(0)                                 // wait for atomic writes

/* check success of writes, update masks */
s_mov_b64 exec, s[62:63]                           // sgprs -> exec
v_cmp_ne_u32 s[58:59], v136, v137                  // c read during atomic != c read during prior load
s_and_b64 s[62:63], s[58:59], s[62:63]             // inBounds & must try again
s_mov_b64 exec, s[64:65]                           // sgprs -> exec
v_cmp_ne_u32 s[58:59], v138, v139                  // c read during atomic != c read during prior load
s_and_b64 s[64:65], s[58:59], s[64:65]             // inBounds & must try again
	;; [unrolled: 3-line block ×12, first 2 shown]

/* or masks to check for exit */
s_mov_b64 s[58:59], 0x0                            // empty mask
s_or_b64 s[58:59], s[62:63], s[58:59]              // or to add threads
s_or_b64 s[58:59], s[64:65], s[58:59]              // or to add threads
	;; [unrolled: 1-line block ×12, first 2 shown]
s_or_saveexec_b64 s[60:61], s[58:59]               // apply combined mask
s_cbranch_execz label_0112                         // if exec is zero skip loop

/* atomic CAS loop */
label_0111:

/* apply updated masks and issue writes again */
s_mov_b64 exec, s[62:63]                           // must try again
v_mov_b32 v137, v136                               // dataV+1 = tmp (new original C)
v_pk_add_f16 v136, v137, v[vgprValuC+84]           // newC = rC + originalC
_buffer_atomic_cmpswap_b32 v[136:137], v134, s[sgprSrdD:sgprSrdD+3] 0 offen offset:0 glc   // attempt write
s_mov_b64 exec, s[64:65]                           // must try again
v_mov_b32 v139, v138                               // dataV+1 = tmp (new original C)
v_pk_add_f16 v138, v139, v[vgprValuC+85]           // newC = rC + originalC
_buffer_atomic_cmpswap_b32 v[138:139], v135, s[sgprSrdD:sgprSrdD+3] 0 offen offset:0 glc   // attempt write
	;; [unrolled: 4-line block ×12, first 2 shown]
s_waitcnt vmcnt(0)                                 // wait for atomic writes

/* apply masks and check for success */
s_mov_b64 exec, s[62:63]                           // must try again
v_cmp_ne_u32 s[58:59], v136, v137                  // c read during atomic != c read during prior load
s_and_b64 s[62:63], s[58:59], s[62:63]             // inBounds & must try again
s_mov_b64 exec, s[64:65]                           // must try again
v_cmp_ne_u32 s[58:59], v138, v139                  // c read during atomic != c read during prior load
s_and_b64 s[64:65], s[58:59], s[64:65]             // inBounds & must try again
	;; [unrolled: 3-line block ×12, first 2 shown]

/* or masks to check for exit */
s_mov_b64 s[58:59], 0x0                            // empty mask
s_or_b64 s[58:59], s[62:63], s[58:59]              // or to add threads
s_or_b64 s[58:59], s[64:65], s[58:59]              // or to add threads
	;; [unrolled: 1-line block ×12, first 2 shown]
s_or_saveexec_b64 s[60:61], s[58:59]               // apply combined mask
s_cbranch_execnz label_0111                        // try again if not complete
label_0112:
s_mov_b64 exec, -1                                 // full mask -> exec
/* optSingleColVgpr=0 optSharedColVgpr=0 optSGPRUsage=None optSrdIncForRow=0 */

/******************************************/
/* Global Write Alpha Edge Batch #8 (d1,d0,vc1,vc0) = */
/*    (3,0,0,0:vw2:vaw:2); (3,0,0,2:vw2:vaw:2); (3,1,0,0:vw2:vaw:2); (3,1,0,2:vw2:vaw:2); (3,2,0,0:vw2:vaw:2); (3,2,0,2:vw2:vaw:2); (3,3,0,0:vw2:vaw:2); (3,3,0,2:vw2:vaw:2); (3,0,1,0:vw2:vaw:2); (3,0,1,2:vw2:vaw:2); (3,1,1,0:vw2:vaw:2); (3,1,1,2:vw2:vaw:2) */
/******************************************/

/* calc coords, apply mask, and issue loads (if necessary) */
/* (d1,vc1,d0,vc0)=(3,0,0,0) */
_v_add_co_u32 v129, vcc, v129, 61                  // coord1.1: coord1Vgpr += d1*sg1*VW + vc1

/* Fix for UseInitialStridesCD, emitAddressSetupCode */
s_mul_i32 s58, s[sgprStrideC1J], 61                // scale stride
_v_add_u32 v130, v130, s58                         // ROWINC- Move cinRowPtr to next row
s_mul_i32 s58, s[sgprStrideD1J], 61                // scale stride
_v_add_u32 v131, v131, s58                         // Move coutRowPtr to next row
v_cmp_lt_u32 s[58:59], v128, s[sgprSizeI]          // coord0 < size0
v_cmp_lt_u32 s[62:63], v129, s[sgprSizeJ]          // coord1 < size1
s_and_b64 s[62:63], s[58:59], s[62:63]             // in0 && in1
_v_add_lshl_u32 v134, v131, v128, 0x1              // scaleToBpe: accumulate d0 lower and *= bpe into Cin addr
v_cndmask_b32 v134, -1, v134, s[62:63]             // LDD clip if OOB. offset
_buffer_load_b32 v137, v134, s[sgprSrdD:sgprSrdD+3], 0, offen offset:0 // load D (atomic) bpm=4 vaw=2
/* (d1,vc1,d0,vc0)=(3,0,0,2) */
_v_add_co_u32 v132, vcc, v128, 2                   // coord0.1: coord0 += d0*sg0*VW + vc0
v_cmp_lt_u32 s[58:59], v132, s[sgprSizeI]          // coord0 < size0
v_cmp_lt_u32 s[64:65], v129, s[sgprSizeJ]          // coord1 < size1
s_and_b64 s[64:65], s[58:59], s[64:65]             // in0 && in1
_v_add_lshl_u32 v135, v131, v132, 0x1              // scaleToBpe: accumulate d0 lower and *= bpe into Cin addr
v_cndmask_b32 v135, -1, v135, s[64:65]             // LDD clip if OOB. offset
_buffer_load_b32 v139, v135, s[sgprSrdD:sgprSrdD+3], 0, offen offset:0 // load D (atomic) bpm=4 vaw=2
/* (d1,vc1,d0,vc0)=(3,0,1,0) */
_v_add_co_u32 v132, vcc, v128, 64                  // coord0.1: coord0 += d0*sg0*VW + vc0
v_cmp_lt_u32 s[58:59], v132, s[sgprSizeI]          // coord0 < size0
v_cmp_lt_u32 s[66:67], v129, s[sgprSizeJ]          // coord1 < size1
s_and_b64 s[66:67], s[58:59], s[66:67]             // in0 && in1
_v_add_lshl_u32 v140, v131, v132, 0x1              // scaleToBpe: accumulate d0 lower and *= bpe into Cin addr
v_cndmask_b32 v140, -1, v140, s[66:67]             // LDD clip if OOB. offset
_buffer_load_b32 v143, v140, s[sgprSrdD:sgprSrdD+3], 0, offen offset:0 // load D (atomic) bpm=4 vaw=2
/* (d1,vc1,d0,vc0)=(3,0,1,2) */
s_mov_b32 s58, 66                                  // coordOffset0 d0=1 vc0=2
_v_add_co_u32 v132, vcc, v128, s58                 // coord0.2: coord0 += d0*sg0*VW + vc0
v_cmp_lt_u32 s[58:59], v132, s[sgprSizeI]          // coord0 < size0
v_cmp_lt_u32 s[68:69], v129, s[sgprSizeJ]          // coord1 < size1
s_and_b64 s[68:69], s[58:59], s[68:69]             // in0 && in1
_v_add_lshl_u32 v141, v131, v132, 0x1              // scaleToBpe: accumulate d0 lower and *= bpe into Cin addr
v_cndmask_b32 v141, -1, v141, s[68:69]             // LDD clip if OOB. offset
_buffer_load_b32 v145, v141, s[sgprSrdD:sgprSrdD+3], 0, offen offset:0 // load D (atomic) bpm=4 vaw=2
/* (d1,vc1,d0,vc0)=(3,0,2,0) */
s_mov_b32 s58, 128                                 // coordOffset0 d0=2 vc0=0
_v_add_co_u32 v132, vcc, v128, s58                 // coord0.2: coord0 += d0*sg0*VW + vc0
v_cmp_lt_u32 s[58:59], v132, s[sgprSizeI]          // coord0 < size0
v_cmp_lt_u32 s[70:71], v129, s[sgprSizeJ]          // coord1 < size1
s_and_b64 s[70:71], s[58:59], s[70:71]             // in0 && in1
_v_add_lshl_u32 v146, v131, v132, 0x1              // scaleToBpe: accumulate d0 lower and *= bpe into Cin addr
v_cndmask_b32 v146, -1, v146, s[70:71]             // LDD clip if OOB. offset
_buffer_load_b32 v149, v146, s[sgprSrdD:sgprSrdD+3], 0, offen offset:0 // load D (atomic) bpm=4 vaw=2
/* (d1,vc1,d0,vc0)=(3,0,2,2) */
s_mov_b32 s58, 130                                 // coordOffset0 d0=2 vc0=2
_v_add_co_u32 v132, vcc, v128, s58                 // coord0.2: coord0 += d0*sg0*VW + vc0
v_cmp_lt_u32 s[58:59], v132, s[sgprSizeI]          // coord0 < size0
v_cmp_lt_u32 s[72:73], v129, s[sgprSizeJ]          // coord1 < size1
s_and_b64 s[72:73], s[58:59], s[72:73]             // in0 && in1
_v_add_lshl_u32 v147, v131, v132, 0x1              // scaleToBpe: accumulate d0 lower and *= bpe into Cin addr
v_cndmask_b32 v147, -1, v147, s[72:73]             // LDD clip if OOB. offset
_buffer_load_b32 v151, v147, s[sgprSrdD:sgprSrdD+3], 0, offen offset:0 // load D (atomic) bpm=4 vaw=2
/* (d1,vc1,d0,vc0)=(3,0,3,0) */
s_mov_b32 s58, 192                                 // coordOffset0 d0=3 vc0=0
_v_add_co_u32 v132, vcc, v128, s58                 // coord0.2: coord0 += d0*sg0*VW + vc0
v_cmp_lt_u32 s[58:59], v132, s[sgprSizeI]          // coord0 < size0
v_cmp_lt_u32 s[74:75], v129, s[sgprSizeJ]          // coord1 < size1
s_and_b64 s[74:75], s[58:59], s[74:75]             // in0 && in1
_v_add_lshl_u32 v152, v131, v132, 0x1              // scaleToBpe: accumulate d0 lower and *= bpe into Cin addr
v_cndmask_b32 v152, -1, v152, s[74:75]             // LDD clip if OOB. offset
_buffer_load_b32 v155, v152, s[sgprSrdD:sgprSrdD+3], 0, offen offset:0 // load D (atomic) bpm=4 vaw=2
/* (d1,vc1,d0,vc0)=(3,0,3,2) */
s_mov_b32 s58, 194                                 // coordOffset0 d0=3 vc0=2
_v_add_co_u32 v132, vcc, v128, s58                 // coord0.2: coord0 += d0*sg0*VW + vc0
v_cmp_lt_u32 s[58:59], v132, s[sgprSizeI]          // coord0 < size0
v_cmp_lt_u32 s[76:77], v129, s[sgprSizeJ]          // coord1 < size1
s_and_b64 s[76:77], s[58:59], s[76:77]             // in0 && in1
_v_add_lshl_u32 v153, v131, v132, 0x1              // scaleToBpe: accumulate d0 lower and *= bpe into Cin addr
v_cndmask_b32 v153, -1, v153, s[76:77]             // LDD clip if OOB. offset
_buffer_load_b32 v157, v153, s[sgprSrdD:sgprSrdD+3], 0, offen offset:0 // load D (atomic) bpm=4 vaw=2
/* (d1,vc1,d0,vc0)=(3,1,0,0) */
_v_add_co_u32 v129, vcc, v129, 1                   // coord1.1: coord1Vgpr += d1*sg1*VW + vc1

/* Fix for UseInitialStridesCD, emitAddressSetupCode */
_v_add_u32 v130, v130, s[sgprStrideC1J]            // ROWINC- Move cinRowPtr to next row
_v_add_u32 v131, v131, s[sgprStrideD1J]            // Move coutRowPtr to next row
v_cmp_lt_u32 s[58:59], v128, s[sgprSizeI]          // coord0 < size0
v_cmp_lt_u32 s[78:79], v129, s[sgprSizeJ]          // coord1 < size1
s_and_b64 s[78:79], s[58:59], s[78:79]             // in0 && in1
_v_add_lshl_u32 v158, v131, v128, 0x1              // scaleToBpe: accumulate d0 lower and *= bpe into Cin addr
v_cndmask_b32 v158, -1, v158, s[78:79]             // LDD clip if OOB. offset
_buffer_load_b32 v161, v158, s[sgprSrdD:sgprSrdD+3], 0, offen offset:0 // load D (atomic) bpm=4 vaw=2
/* (d1,vc1,d0,vc0)=(3,1,0,2) */
_v_add_co_u32 v132, vcc, v128, 2                   // coord0.1: coord0 += d0*sg0*VW + vc0
v_cmp_lt_u32 s[58:59], v132, s[sgprSizeI]          // coord0 < size0
v_cmp_lt_u32 s[80:81], v129, s[sgprSizeJ]          // coord1 < size1
s_and_b64 s[80:81], s[58:59], s[80:81]             // in0 && in1
_v_add_lshl_u32 v159, v131, v132, 0x1              // scaleToBpe: accumulate d0 lower and *= bpe into Cin addr
v_cndmask_b32 v159, -1, v159, s[80:81]             // LDD clip if OOB. offset
_buffer_load_b32 v163, v159, s[sgprSrdD:sgprSrdD+3], 0, offen offset:0 // load D (atomic) bpm=4 vaw=2
/* (d1,vc1,d0,vc0)=(3,1,1,0) */
_v_add_co_u32 v132, vcc, v128, 64                  // coord0.1: coord0 += d0*sg0*VW + vc0
v_cmp_lt_u32 s[58:59], v132, s[sgprSizeI]          // coord0 < size0
v_cmp_lt_u32 s[82:83], v129, s[sgprSizeJ]          // coord1 < size1
s_and_b64 s[82:83], s[58:59], s[82:83]             // in0 && in1
_v_add_lshl_u32 v164, v131, v132, 0x1              // scaleToBpe: accumulate d0 lower and *= bpe into Cin addr
v_cndmask_b32 v164, -1, v164, s[82:83]             // LDD clip if OOB. offset
_buffer_load_b32 v167, v164, s[sgprSrdD:sgprSrdD+3], 0, offen offset:0 // load D (atomic) bpm=4 vaw=2
/* (d1,vc1,d0,vc0)=(3,1,1,2) */
s_mov_b32 s58, 66                                  // coordOffset0 d0=1 vc0=2
_v_add_co_u32 v132, vcc, v128, s58                 // coord0.2: coord0 += d0*sg0*VW + vc0
v_cmp_lt_u32 s[58:59], v132, s[sgprSizeI]          // coord0 < size0
v_cmp_lt_u32 s[84:85], v129, s[sgprSizeJ]          // coord1 < size1
s_and_b64 s[84:85], s[58:59], s[84:85]             // in0 && in1
_v_add_lshl_u32 v165, v131, v132, 0x1              // scaleToBpe: accumulate d0 lower and *= bpe into Cin addr
v_cndmask_b32 v165, -1, v165, s[84:85]             // LDD clip if OOB. offset
_buffer_load_b32 v169, v165, s[sgprSrdD:sgprSrdD+3], 0, offen offset:0 // load D (atomic) bpm=4 vaw=2

/* rC *= alpha batchElements=[(3, 0, 0, 0), (3, 0, 0, 2), (3, 1, 0, 0), (3, 1, 0, 2), (3, 2, 0, 0), (3, 2, 0, 2), (3, 3, 0, 0), (3, 3, 0, 2), (3, 0, 1, 0), (3, 0, 1, 2), (3, 1, 1, 0), (3, 1, 1, 2)] */
v_pk_mul_f16 v[vgprValuC+96], s[sgprAlpha], v[vgprValuC+96] // *= alpha sumIdx=192 vi=1
v_pk_mul_f16 v[vgprValuC+97], s[sgprAlpha], v[vgprValuC+97] // *= alpha sumIdx=194 vi=1
	;; [unrolled: 1-line block ×12, first 2 shown]
s_waitcnt vmcnt(0)                                 // wait C (atomic)

/* issue first atomic writes */
s_mov_b64 exec, s[62:63]                           // sgprs -> exec (before atomic)
v_pk_add_f16 v136, v137, v[vgprValuC+96]           // desired value
_buffer_atomic_cmpswap_b32 v[136:137], v134, s[sgprSrdD:sgprSrdD+3] 0 offen offset:0 glc   // attempt write
s_mov_b64 exec, s[64:65]                           // sgprs -> exec (before atomic)
v_pk_add_f16 v138, v139, v[vgprValuC+97]           // desired value
_buffer_atomic_cmpswap_b32 v[138:139], v135, s[sgprSrdD:sgprSrdD+3] 0 offen offset:0 glc   // attempt write
	;; [unrolled: 3-line block ×4, first 2 shown]
s_mov_b64 exec, s[70:71]                           // sgprs -> exec (before atomic)
v_pk_add_f16 v148, v149, v[vgprValuC+100]          // desired value
_buffer_atomic_cmpswap_b32 v[148:149], v146, s[sgprSrdD:sgprSrdD+3] 0 offen offset:0 glc   // attempt write
s_mov_b64 exec, s[72:73]                           // sgprs -> exec (before atomic)
v_pk_add_f16 v150, v151, v[vgprValuC+101]          // desired value
_buffer_atomic_cmpswap_b32 v[150:151], v147, s[sgprSrdD:sgprSrdD+3] 0 offen offset:0 glc   // attempt write
	;; [unrolled: 3-line block ×8, first 2 shown]
s_waitcnt vmcnt(0)                                 // wait for atomic writes

/* check success of writes, update masks */
s_mov_b64 exec, s[62:63]                           // sgprs -> exec
v_cmp_ne_u32 s[58:59], v136, v137                  // c read during atomic != c read during prior load
s_and_b64 s[62:63], s[58:59], s[62:63]             // inBounds & must try again
s_mov_b64 exec, s[64:65]                           // sgprs -> exec
v_cmp_ne_u32 s[58:59], v138, v139                  // c read during atomic != c read during prior load
s_and_b64 s[64:65], s[58:59], s[64:65]             // inBounds & must try again
	;; [unrolled: 3-line block ×12, first 2 shown]

/* or masks to check for exit */
s_mov_b64 s[58:59], 0x0                            // empty mask
s_or_b64 s[58:59], s[62:63], s[58:59]              // or to add threads
s_or_b64 s[58:59], s[64:65], s[58:59]              // or to add threads
	;; [unrolled: 1-line block ×12, first 2 shown]
s_or_saveexec_b64 s[60:61], s[58:59]               // apply combined mask
s_cbranch_execz label_0114                         // if exec is zero skip loop

/* atomic CAS loop */
label_0113:

/* apply updated masks and issue writes again */
s_mov_b64 exec, s[62:63]                           // must try again
v_mov_b32 v137, v136                               // dataV+1 = tmp (new original C)
v_pk_add_f16 v136, v137, v[vgprValuC+96]           // newC = rC + originalC
_buffer_atomic_cmpswap_b32 v[136:137], v134, s[sgprSrdD:sgprSrdD+3] 0 offen offset:0 glc   // attempt write
s_mov_b64 exec, s[64:65]                           // must try again
v_mov_b32 v139, v138                               // dataV+1 = tmp (new original C)
v_pk_add_f16 v138, v139, v[vgprValuC+97]           // newC = rC + originalC
_buffer_atomic_cmpswap_b32 v[138:139], v135, s[sgprSrdD:sgprSrdD+3] 0 offen offset:0 glc   // attempt write
	;; [unrolled: 4-line block ×4, first 2 shown]
s_mov_b64 exec, s[70:71]                           // must try again
v_mov_b32 v149, v148                               // dataV+1 = tmp (new original C)
v_pk_add_f16 v148, v149, v[vgprValuC+100]          // newC = rC + originalC
_buffer_atomic_cmpswap_b32 v[148:149], v146, s[sgprSrdD:sgprSrdD+3] 0 offen offset:0 glc   // attempt write
s_mov_b64 exec, s[72:73]                           // must try again
v_mov_b32 v151, v150                               // dataV+1 = tmp (new original C)
v_pk_add_f16 v150, v151, v[vgprValuC+101]          // newC = rC + originalC
_buffer_atomic_cmpswap_b32 v[150:151], v147, s[sgprSrdD:sgprSrdD+3] 0 offen offset:0 glc   // attempt write
	;; [unrolled: 4-line block ×8, first 2 shown]
s_waitcnt vmcnt(0)                                 // wait for atomic writes

/* apply masks and check for success */
s_mov_b64 exec, s[62:63]                           // must try again
v_cmp_ne_u32 s[58:59], v136, v137                  // c read during atomic != c read during prior load
s_and_b64 s[62:63], s[58:59], s[62:63]             // inBounds & must try again
s_mov_b64 exec, s[64:65]                           // must try again
v_cmp_ne_u32 s[58:59], v138, v139                  // c read during atomic != c read during prior load
s_and_b64 s[64:65], s[58:59], s[64:65]             // inBounds & must try again
	;; [unrolled: 3-line block ×12, first 2 shown]

/* or masks to check for exit */
s_mov_b64 s[58:59], 0x0                            // empty mask
s_or_b64 s[58:59], s[62:63], s[58:59]              // or to add threads
s_or_b64 s[58:59], s[64:65], s[58:59]              // or to add threads
	;; [unrolled: 1-line block ×12, first 2 shown]
s_or_saveexec_b64 s[60:61], s[58:59]               // apply combined mask
s_cbranch_execnz label_0113                        // try again if not complete
label_0114:
s_mov_b64 exec, -1                                 // full mask -> exec
/* optSingleColVgpr=0 optSharedColVgpr=0 optSGPRUsage=None optSrdIncForRow=0 */

/******************************************/
/* Global Write Alpha Edge Batch #9 (d1,d0,vc1,vc0) = */
/*    (3,2,1,0:vw2:vaw:2); (3,2,1,2:vw2:vaw:2); (3,3,1,0:vw2:vaw:2); (3,3,1,2:vw2:vaw:2); (3,0,2,0:vw2:vaw:2); (3,0,2,2:vw2:vaw:2); (3,1,2,0:vw2:vaw:2); (3,1,2,2:vw2:vaw:2); (3,2,2,0:vw2:vaw:2); (3,2,2,2:vw2:vaw:2); (3,3,2,0:vw2:vaw:2); (3,3,2,2:vw2:vaw:2) */
/******************************************/

/* calc coords, apply mask, and issue loads (if necessary) */
/* (d1,vc1,d0,vc0)=(3,1,2,0) */
s_mov_b32 s58, 128                                 // coordOffset0 d0=2 vc0=0
_v_add_co_u32 v132, vcc, v128, s58                 // coord0.2: coord0 += d0*sg0*VW + vc0
v_cmp_lt_u32 s[58:59], v132, s[sgprSizeI]          // coord0 < size0
v_cmp_lt_u32 s[62:63], v129, s[sgprSizeJ]          // coord1 < size1
s_and_b64 s[62:63], s[58:59], s[62:63]             // in0 && in1
_v_add_lshl_u32 v134, v131, v132, 0x1              // scaleToBpe: accumulate d0 lower and *= bpe into Cin addr
v_cndmask_b32 v134, -1, v134, s[62:63]             // LDD clip if OOB. offset
_buffer_load_b32 v137, v134, s[sgprSrdD:sgprSrdD+3], 0, offen offset:0 // load D (atomic) bpm=4 vaw=2
/* (d1,vc1,d0,vc0)=(3,1,2,2) */
s_mov_b32 s58, 130                                 // coordOffset0 d0=2 vc0=2
_v_add_co_u32 v132, vcc, v128, s58                 // coord0.2: coord0 += d0*sg0*VW + vc0
v_cmp_lt_u32 s[58:59], v132, s[sgprSizeI]          // coord0 < size0
v_cmp_lt_u32 s[64:65], v129, s[sgprSizeJ]          // coord1 < size1
s_and_b64 s[64:65], s[58:59], s[64:65]             // in0 && in1
_v_add_lshl_u32 v135, v131, v132, 0x1              // scaleToBpe: accumulate d0 lower and *= bpe into Cin addr
v_cndmask_b32 v135, -1, v135, s[64:65]             // LDD clip if OOB. offset
_buffer_load_b32 v139, v135, s[sgprSrdD:sgprSrdD+3], 0, offen offset:0 // load D (atomic) bpm=4 vaw=2
	;; [unrolled: 9-line block ×4, first 2 shown]
/* (d1,vc1,d0,vc0)=(3,2,0,0) */
_v_add_co_u32 v129, vcc, v129, 1                   // coord1.1: coord1Vgpr += d1*sg1*VW + vc1

/* Fix for UseInitialStridesCD, emitAddressSetupCode */
_v_add_u32 v130, v130, s[sgprStrideC1J]            // ROWINC- Move cinRowPtr to next row
_v_add_u32 v131, v131, s[sgprStrideD1J]            // Move coutRowPtr to next row
v_cmp_lt_u32 s[58:59], v128, s[sgprSizeI]          // coord0 < size0
v_cmp_lt_u32 s[70:71], v129, s[sgprSizeJ]          // coord1 < size1
s_and_b64 s[70:71], s[58:59], s[70:71]             // in0 && in1
_v_add_lshl_u32 v146, v131, v128, 0x1              // scaleToBpe: accumulate d0 lower and *= bpe into Cin addr
v_cndmask_b32 v146, -1, v146, s[70:71]             // LDD clip if OOB. offset
_buffer_load_b32 v149, v146, s[sgprSrdD:sgprSrdD+3], 0, offen offset:0 // load D (atomic) bpm=4 vaw=2
/* (d1,vc1,d0,vc0)=(3,2,0,2) */
_v_add_co_u32 v132, vcc, v128, 2                   // coord0.1: coord0 += d0*sg0*VW + vc0
v_cmp_lt_u32 s[58:59], v132, s[sgprSizeI]          // coord0 < size0
v_cmp_lt_u32 s[72:73], v129, s[sgprSizeJ]          // coord1 < size1
s_and_b64 s[72:73], s[58:59], s[72:73]             // in0 && in1
_v_add_lshl_u32 v147, v131, v132, 0x1              // scaleToBpe: accumulate d0 lower and *= bpe into Cin addr
v_cndmask_b32 v147, -1, v147, s[72:73]             // LDD clip if OOB. offset
_buffer_load_b32 v151, v147, s[sgprSrdD:sgprSrdD+3], 0, offen offset:0 // load D (atomic) bpm=4 vaw=2
/* (d1,vc1,d0,vc0)=(3,2,1,0) */
_v_add_co_u32 v132, vcc, v128, 64                  // coord0.1: coord0 += d0*sg0*VW + vc0
v_cmp_lt_u32 s[58:59], v132, s[sgprSizeI]          // coord0 < size0
v_cmp_lt_u32 s[74:75], v129, s[sgprSizeJ]          // coord1 < size1
s_and_b64 s[74:75], s[58:59], s[74:75]             // in0 && in1
_v_add_lshl_u32 v152, v131, v132, 0x1              // scaleToBpe: accumulate d0 lower and *= bpe into Cin addr
v_cndmask_b32 v152, -1, v152, s[74:75]             // LDD clip if OOB. offset
_buffer_load_b32 v155, v152, s[sgprSrdD:sgprSrdD+3], 0, offen offset:0 // load D (atomic) bpm=4 vaw=2
/* (d1,vc1,d0,vc0)=(3,2,1,2) */
s_mov_b32 s58, 66                                  // coordOffset0 d0=1 vc0=2
_v_add_co_u32 v132, vcc, v128, s58                 // coord0.2: coord0 += d0*sg0*VW + vc0
v_cmp_lt_u32 s[58:59], v132, s[sgprSizeI]          // coord0 < size0
v_cmp_lt_u32 s[76:77], v129, s[sgprSizeJ]          // coord1 < size1
s_and_b64 s[76:77], s[58:59], s[76:77]             // in0 && in1
_v_add_lshl_u32 v153, v131, v132, 0x1              // scaleToBpe: accumulate d0 lower and *= bpe into Cin addr
v_cndmask_b32 v153, -1, v153, s[76:77]             // LDD clip if OOB. offset
_buffer_load_b32 v157, v153, s[sgprSrdD:sgprSrdD+3], 0, offen offset:0 // load D (atomic) bpm=4 vaw=2
/* (d1,vc1,d0,vc0)=(3,2,2,0) */
s_mov_b32 s58, 128                                 // coordOffset0 d0=2 vc0=0
_v_add_co_u32 v132, vcc, v128, s58                 // coord0.2: coord0 += d0*sg0*VW + vc0
v_cmp_lt_u32 s[58:59], v132, s[sgprSizeI]          // coord0 < size0
v_cmp_lt_u32 s[78:79], v129, s[sgprSizeJ]          // coord1 < size1
s_and_b64 s[78:79], s[58:59], s[78:79]             // in0 && in1
_v_add_lshl_u32 v158, v131, v132, 0x1              // scaleToBpe: accumulate d0 lower and *= bpe into Cin addr
v_cndmask_b32 v158, -1, v158, s[78:79]             // LDD clip if OOB. offset
_buffer_load_b32 v161, v158, s[sgprSrdD:sgprSrdD+3], 0, offen offset:0 // load D (atomic) bpm=4 vaw=2
/* (d1,vc1,d0,vc0)=(3,2,2,2) */
s_mov_b32 s58, 130                                 // coordOffset0 d0=2 vc0=2
	;; [unrolled: 9-line block ×4, first 2 shown]
_v_add_co_u32 v132, vcc, v128, s58                 // coord0.2: coord0 += d0*sg0*VW + vc0
v_cmp_lt_u32 s[58:59], v132, s[sgprSizeI]          // coord0 < size0
v_cmp_lt_u32 s[84:85], v129, s[sgprSizeJ]          // coord1 < size1
s_and_b64 s[84:85], s[58:59], s[84:85]             // in0 && in1
_v_add_lshl_u32 v165, v131, v132, 0x1              // scaleToBpe: accumulate d0 lower and *= bpe into Cin addr
v_cndmask_b32 v165, -1, v165, s[84:85]             // LDD clip if OOB. offset
_buffer_load_b32 v169, v165, s[sgprSrdD:sgprSrdD+3], 0, offen offset:0 // load D (atomic) bpm=4 vaw=2

/* rC *= alpha batchElements=[(3, 2, 1, 0), (3, 2, 1, 2), (3, 3, 1, 0), (3, 3, 1, 2), (3, 0, 2, 0), (3, 0, 2, 2), (3, 1, 2, 0), (3, 1, 2, 2), (3, 2, 2, 0), (3, 2, 2, 2), (3, 3, 2, 0), (3, 3, 2, 2)] */
v_pk_mul_f16 v[vgprValuC+108], s[sgprAlpha], v[vgprValuC+108] // *= alpha sumIdx=216 vi=1
v_pk_mul_f16 v[vgprValuC+109], s[sgprAlpha], v[vgprValuC+109] // *= alpha sumIdx=218 vi=1
	;; [unrolled: 1-line block ×12, first 2 shown]
s_waitcnt vmcnt(0)                                 // wait C (atomic)

/* issue first atomic writes */
s_mov_b64 exec, s[62:63]                           // sgprs -> exec (before atomic)
v_pk_add_f16 v136, v137, v[vgprValuC+108]          // desired value
_buffer_atomic_cmpswap_b32 v[136:137], v134, s[sgprSrdD:sgprSrdD+3] 0 offen offset:0 glc   // attempt write
s_mov_b64 exec, s[64:65]                           // sgprs -> exec (before atomic)
v_pk_add_f16 v138, v139, v[vgprValuC+109]          // desired value
_buffer_atomic_cmpswap_b32 v[138:139], v135, s[sgprSrdD:sgprSrdD+3] 0 offen offset:0 glc   // attempt write
	;; [unrolled: 3-line block ×12, first 2 shown]
s_waitcnt vmcnt(0)                                 // wait for atomic writes

/* check success of writes, update masks */
s_mov_b64 exec, s[62:63]                           // sgprs -> exec
v_cmp_ne_u32 s[58:59], v136, v137                  // c read during atomic != c read during prior load
s_and_b64 s[62:63], s[58:59], s[62:63]             // inBounds & must try again
s_mov_b64 exec, s[64:65]                           // sgprs -> exec
v_cmp_ne_u32 s[58:59], v138, v139                  // c read during atomic != c read during prior load
s_and_b64 s[64:65], s[58:59], s[64:65]             // inBounds & must try again
	;; [unrolled: 3-line block ×12, first 2 shown]

/* or masks to check for exit */
s_mov_b64 s[58:59], 0x0                            // empty mask
s_or_b64 s[58:59], s[62:63], s[58:59]              // or to add threads
s_or_b64 s[58:59], s[64:65], s[58:59]              // or to add threads
	;; [unrolled: 1-line block ×12, first 2 shown]
s_or_saveexec_b64 s[60:61], s[58:59]               // apply combined mask
s_cbranch_execz label_0116                         // if exec is zero skip loop

/* atomic CAS loop */
label_0115:

/* apply updated masks and issue writes again */
s_mov_b64 exec, s[62:63]                           // must try again
v_mov_b32 v137, v136                               // dataV+1 = tmp (new original C)
v_pk_add_f16 v136, v137, v[vgprValuC+108]          // newC = rC + originalC
_buffer_atomic_cmpswap_b32 v[136:137], v134, s[sgprSrdD:sgprSrdD+3] 0 offen offset:0 glc   // attempt write
s_mov_b64 exec, s[64:65]                           // must try again
v_mov_b32 v139, v138                               // dataV+1 = tmp (new original C)
v_pk_add_f16 v138, v139, v[vgprValuC+109]          // newC = rC + originalC
_buffer_atomic_cmpswap_b32 v[138:139], v135, s[sgprSrdD:sgprSrdD+3] 0 offen offset:0 glc   // attempt write
	;; [unrolled: 4-line block ×12, first 2 shown]
s_waitcnt vmcnt(0)                                 // wait for atomic writes

/* apply masks and check for success */
s_mov_b64 exec, s[62:63]                           // must try again
v_cmp_ne_u32 s[58:59], v136, v137                  // c read during atomic != c read during prior load
s_and_b64 s[62:63], s[58:59], s[62:63]             // inBounds & must try again
s_mov_b64 exec, s[64:65]                           // must try again
v_cmp_ne_u32 s[58:59], v138, v139                  // c read during atomic != c read during prior load
s_and_b64 s[64:65], s[58:59], s[64:65]             // inBounds & must try again
s_mov_b64 exec, s[66:67]                           // must try again
v_cmp_ne_u32 s[58:59], v142, v143                  // c read during atomic != c read during prior load
s_and_b64 s[66:67], s[58:59], s[66:67]             // inBounds & must try again
s_mov_b64 exec, s[68:69]                           // must try again
v_cmp_ne_u32 s[58:59], v144, v145                  // c read during atomic != c read during prior load
s_and_b64 s[68:69], s[58:59], s[68:69]             // inBounds & must try again
s_mov_b64 exec, s[70:71]                           // must try again
v_cmp_ne_u32 s[58:59], v148, v149                  // c read during atomic != c read during prior load
s_and_b64 s[70:71], s[58:59], s[70:71]             // inBounds & must try again
s_mov_b64 exec, s[72:73]                           // must try again
v_cmp_ne_u32 s[58:59], v150, v151                  // c read during atomic != c read during prior load
s_and_b64 s[72:73], s[58:59], s[72:73]             // inBounds & must try again
s_mov_b64 exec, s[74:75]                           // must try again
v_cmp_ne_u32 s[58:59], v154, v155                  // c read during atomic != c read during prior load
s_and_b64 s[74:75], s[58:59], s[74:75]             // inBounds & must try again
s_mov_b64 exec, s[76:77]                           // must try again
v_cmp_ne_u32 s[58:59], v156, v157                  // c read during atomic != c read during prior load
s_and_b64 s[76:77], s[58:59], s[76:77]             // inBounds & must try again
s_mov_b64 exec, s[78:79]                           // must try again
v_cmp_ne_u32 s[58:59], v160, v161                  // c read during atomic != c read during prior load
s_and_b64 s[78:79], s[58:59], s[78:79]             // inBounds & must try again
s_mov_b64 exec, s[80:81]                           // must try again
v_cmp_ne_u32 s[58:59], v162, v163                  // c read during atomic != c read during prior load
s_and_b64 s[80:81], s[58:59], s[80:81]             // inBounds & must try again
s_mov_b64 exec, s[82:83]                           // must try again
v_cmp_ne_u32 s[58:59], v166, v167                  // c read during atomic != c read during prior load
s_and_b64 s[82:83], s[58:59], s[82:83]             // inBounds & must try again
s_mov_b64 exec, s[84:85]                           // must try again
v_cmp_ne_u32 s[58:59], v168, v169                  // c read during atomic != c read during prior load
s_and_b64 s[84:85], s[58:59], s[84:85]             // inBounds & must try again

/* or masks to check for exit */
s_mov_b64 s[58:59], 0x0                            // empty mask
s_or_b64 s[58:59], s[62:63], s[58:59]              // or to add threads
s_or_b64 s[58:59], s[64:65], s[58:59]              // or to add threads
	;; [unrolled: 1-line block ×12, first 2 shown]
s_or_saveexec_b64 s[60:61], s[58:59]               // apply combined mask
s_cbranch_execnz label_0115                        // try again if not complete
label_0116:
s_mov_b64 exec, -1                                 // full mask -> exec
/* optSingleColVgpr=0 optSharedColVgpr=0 optSGPRUsage=None optSrdIncForRow=0 */

/******************************************/
/* Global Write Alpha Edge Batch #10 (d1,d0,vc1,vc0) = */
/*    (3,0,3,0:vw2:vaw:2); (3,0,3,2:vw2:vaw:2); (3,1,3,0:vw2:vaw:2); (3,1,3,2:vw2:vaw:2); (3,2,3,0:vw2:vaw:2); (3,2,3,2:vw2:vaw:2); (3,3,3,0:vw2:vaw:2); (3,3,3,2:vw2:vaw:2) */
/******************************************/

/* calc coords, apply mask, and issue loads (if necessary) */
/* (d1,vc1,d0,vc0)=(3,3,0,0) */
_v_add_co_u32 v129, vcc, v129, 1                   // coord1.1: coord1Vgpr += d1*sg1*VW + vc1

/* Fix for UseInitialStridesCD, emitAddressSetupCode */
_v_add_u32 v130, v130, s[sgprStrideC1J]            // ROWINC- Move cinRowPtr to next row
_v_add_u32 v131, v131, s[sgprStrideD1J]            // Move coutRowPtr to next row
v_cmp_lt_u32 s[58:59], v128, s[sgprSizeI]          // coord0 < size0
v_cmp_lt_u32 s[62:63], v129, s[sgprSizeJ]          // coord1 < size1
s_and_b64 s[62:63], s[58:59], s[62:63]             // in0 && in1
_v_add_lshl_u32 v134, v131, v128, 0x1              // scaleToBpe: accumulate d0 lower and *= bpe into Cin addr
v_cndmask_b32 v134, -1, v134, s[62:63]             // LDD clip if OOB. offset
_buffer_load_b32 v137, v134, s[sgprSrdD:sgprSrdD+3], 0, offen offset:0 // load D (atomic) bpm=4 vaw=2
/* (d1,vc1,d0,vc0)=(3,3,0,2) */
_v_add_co_u32 v132, vcc, v128, 2                   // coord0.1: coord0 += d0*sg0*VW + vc0
v_cmp_lt_u32 s[58:59], v132, s[sgprSizeI]          // coord0 < size0
v_cmp_lt_u32 s[64:65], v129, s[sgprSizeJ]          // coord1 < size1
s_and_b64 s[64:65], s[58:59], s[64:65]             // in0 && in1
_v_add_lshl_u32 v135, v131, v132, 0x1              // scaleToBpe: accumulate d0 lower and *= bpe into Cin addr
v_cndmask_b32 v135, -1, v135, s[64:65]             // LDD clip if OOB. offset
_buffer_load_b32 v139, v135, s[sgprSrdD:sgprSrdD+3], 0, offen offset:0 // load D (atomic) bpm=4 vaw=2
/* (d1,vc1,d0,vc0)=(3,3,1,0) */
_v_add_co_u32 v132, vcc, v128, 64                  // coord0.1: coord0 += d0*sg0*VW + vc0
v_cmp_lt_u32 s[58:59], v132, s[sgprSizeI]          // coord0 < size0
v_cmp_lt_u32 s[66:67], v129, s[sgprSizeJ]          // coord1 < size1
s_and_b64 s[66:67], s[58:59], s[66:67]             // in0 && in1
_v_add_lshl_u32 v140, v131, v132, 0x1              // scaleToBpe: accumulate d0 lower and *= bpe into Cin addr
v_cndmask_b32 v140, -1, v140, s[66:67]             // LDD clip if OOB. offset
_buffer_load_b32 v143, v140, s[sgprSrdD:sgprSrdD+3], 0, offen offset:0 // load D (atomic) bpm=4 vaw=2
/* (d1,vc1,d0,vc0)=(3,3,1,2) */
s_mov_b32 s58, 66                                  // coordOffset0 d0=1 vc0=2
_v_add_co_u32 v132, vcc, v128, s58                 // coord0.2: coord0 += d0*sg0*VW + vc0
v_cmp_lt_u32 s[58:59], v132, s[sgprSizeI]          // coord0 < size0
v_cmp_lt_u32 s[68:69], v129, s[sgprSizeJ]          // coord1 < size1
s_and_b64 s[68:69], s[58:59], s[68:69]             // in0 && in1
_v_add_lshl_u32 v141, v131, v132, 0x1              // scaleToBpe: accumulate d0 lower and *= bpe into Cin addr
v_cndmask_b32 v141, -1, v141, s[68:69]             // LDD clip if OOB. offset
_buffer_load_b32 v145, v141, s[sgprSrdD:sgprSrdD+3], 0, offen offset:0 // load D (atomic) bpm=4 vaw=2
/* (d1,vc1,d0,vc0)=(3,3,2,0) */
s_mov_b32 s58, 128                                 // coordOffset0 d0=2 vc0=0
_v_add_co_u32 v132, vcc, v128, s58                 // coord0.2: coord0 += d0*sg0*VW + vc0
v_cmp_lt_u32 s[58:59], v132, s[sgprSizeI]          // coord0 < size0
v_cmp_lt_u32 s[70:71], v129, s[sgprSizeJ]          // coord1 < size1
s_and_b64 s[70:71], s[58:59], s[70:71]             // in0 && in1
_v_add_lshl_u32 v146, v131, v132, 0x1              // scaleToBpe: accumulate d0 lower and *= bpe into Cin addr
v_cndmask_b32 v146, -1, v146, s[70:71]             // LDD clip if OOB. offset
_buffer_load_b32 v149, v146, s[sgprSrdD:sgprSrdD+3], 0, offen offset:0 // load D (atomic) bpm=4 vaw=2
/* (d1,vc1,d0,vc0)=(3,3,2,2) */
s_mov_b32 s58, 130                                 // coordOffset0 d0=2 vc0=2
	;; [unrolled: 9-line block ×4, first 2 shown]
_v_add_co_u32 v132, vcc, v128, s58                 // coord0.2: coord0 += d0*sg0*VW + vc0
v_cmp_lt_u32 s[58:59], v132, s[sgprSizeI]          // coord0 < size0
v_cmp_lt_u32 s[76:77], v129, s[sgprSizeJ]          // coord1 < size1
s_and_b64 s[76:77], s[58:59], s[76:77]             // in0 && in1
_v_add_lshl_u32 v153, v131, v132, 0x1              // scaleToBpe: accumulate d0 lower and *= bpe into Cin addr
v_cndmask_b32 v153, -1, v153, s[76:77]             // LDD clip if OOB. offset
_buffer_load_b32 v157, v153, s[sgprSrdD:sgprSrdD+3], 0, offen offset:0 // load D (atomic) bpm=4 vaw=2

/* rC *= alpha batchElements=[(3, 0, 3, 0), (3, 0, 3, 2), (3, 1, 3, 0), (3, 1, 3, 2), (3, 2, 3, 0), (3, 2, 3, 2), (3, 3, 3, 0), (3, 3, 3, 2)] */
v_pk_mul_f16 v[vgprValuC+120], s[sgprAlpha], v[vgprValuC+120] // *= alpha sumIdx=240 vi=1
v_pk_mul_f16 v[vgprValuC+121], s[sgprAlpha], v[vgprValuC+121] // *= alpha sumIdx=242 vi=1
	;; [unrolled: 1-line block ×8, first 2 shown]
s_waitcnt vmcnt(0)                                 // wait C (atomic)

/* issue first atomic writes */
s_mov_b64 exec, s[62:63]                           // sgprs -> exec (before atomic)
v_pk_add_f16 v136, v137, v[vgprValuC+120]          // desired value
_buffer_atomic_cmpswap_b32 v[136:137], v134, s[sgprSrdD:sgprSrdD+3] 0 offen offset:0 glc   // attempt write
s_mov_b64 exec, s[64:65]                           // sgprs -> exec (before atomic)
v_pk_add_f16 v138, v139, v[vgprValuC+121]          // desired value
_buffer_atomic_cmpswap_b32 v[138:139], v135, s[sgprSrdD:sgprSrdD+3] 0 offen offset:0 glc   // attempt write
	;; [unrolled: 3-line block ×8, first 2 shown]
s_waitcnt vmcnt(0)                                 // wait for atomic writes

/* check success of writes, update masks */
s_mov_b64 exec, s[62:63]                           // sgprs -> exec
v_cmp_ne_u32 s[58:59], v136, v137                  // c read during atomic != c read during prior load
s_and_b64 s[62:63], s[58:59], s[62:63]             // inBounds & must try again
s_mov_b64 exec, s[64:65]                           // sgprs -> exec
v_cmp_ne_u32 s[58:59], v138, v139                  // c read during atomic != c read during prior load
s_and_b64 s[64:65], s[58:59], s[64:65]             // inBounds & must try again
	;; [unrolled: 3-line block ×8, first 2 shown]

/* or masks to check for exit */
s_mov_b64 s[58:59], 0x0                            // empty mask
s_or_b64 s[58:59], s[62:63], s[58:59]              // or to add threads
s_or_b64 s[58:59], s[64:65], s[58:59]              // or to add threads
	;; [unrolled: 1-line block ×8, first 2 shown]
s_or_saveexec_b64 s[60:61], s[58:59]               // apply combined mask
s_cbranch_execz label_0118                         // if exec is zero skip loop

/* atomic CAS loop */
label_0117:

/* apply updated masks and issue writes again */
s_mov_b64 exec, s[62:63]                           // must try again
v_mov_b32 v137, v136                               // dataV+1 = tmp (new original C)
v_pk_add_f16 v136, v137, v[vgprValuC+120]          // newC = rC + originalC
_buffer_atomic_cmpswap_b32 v[136:137], v134, s[sgprSrdD:sgprSrdD+3] 0 offen offset:0 glc   // attempt write
s_mov_b64 exec, s[64:65]                           // must try again
v_mov_b32 v139, v138                               // dataV+1 = tmp (new original C)
v_pk_add_f16 v138, v139, v[vgprValuC+121]          // newC = rC + originalC
_buffer_atomic_cmpswap_b32 v[138:139], v135, s[sgprSrdD:sgprSrdD+3] 0 offen offset:0 glc   // attempt write
	;; [unrolled: 4-line block ×8, first 2 shown]
s_waitcnt vmcnt(0)                                 // wait for atomic writes

/* apply masks and check for success */
s_mov_b64 exec, s[62:63]                           // must try again
v_cmp_ne_u32 s[58:59], v136, v137                  // c read during atomic != c read during prior load
s_and_b64 s[62:63], s[58:59], s[62:63]             // inBounds & must try again
s_mov_b64 exec, s[64:65]                           // must try again
v_cmp_ne_u32 s[58:59], v138, v139                  // c read during atomic != c read during prior load
s_and_b64 s[64:65], s[58:59], s[64:65]             // inBounds & must try again
	;; [unrolled: 3-line block ×8, first 2 shown]

/* or masks to check for exit */
s_mov_b64 s[58:59], 0x0                            // empty mask
s_or_b64 s[58:59], s[62:63], s[58:59]              // or to add threads
s_or_b64 s[58:59], s[64:65], s[58:59]              // or to add threads
	;; [unrolled: 1-line block ×8, first 2 shown]
s_or_saveexec_b64 s[60:61], s[58:59]               // apply combined mask
s_cbranch_execnz label_0117                        // try again if not complete
label_0118:
s_mov_b64 exec, -1                                 // full mask -> exec
s_branch label_GW_End_70                           // jump to end
label_GW_End_70:

label_0119:  /// KernelEnd
s_endpgm                                           // Kernel End

